;; amdgpu-corpus repo=zjin-lcf/HeCBench kind=compiled arch=gfx906 opt=O3
	.amdgcn_target "amdgcn-amd-amdhsa--gfx906"
	.amdhsa_code_object_version 6
	.section	.text._Z6conv1dIdEvPKT_PS0_ii,"axG",@progbits,_Z6conv1dIdEvPKT_PS0_ii,comdat
	.protected	_Z6conv1dIdEvPKT_PS0_ii ; -- Begin function _Z6conv1dIdEvPKT_PS0_ii
	.globl	_Z6conv1dIdEvPKT_PS0_ii
	.p2align	8
	.type	_Z6conv1dIdEvPKT_PS0_ii,@function
_Z6conv1dIdEvPKT_PS0_ii:                ; @_Z6conv1dIdEvPKT_PS0_ii
; %bb.0:
	s_load_dword s0, s[4:5], 0x24
	s_load_dwordx4 s[8:11], s[4:5], 0x8
	s_waitcnt lgkmcnt(0)
	s_and_b32 s0, s0, 0xffff
	s_mul_i32 s6, s6, s0
	s_cmp_lt_i32 s11, 1
	v_add_u32_e32 v0, s6, v0
	s_cbranch_scc1 .LBB0_5
; %bb.1:
	s_load_dwordx2 s[2:3], s[4:5], 0x0
	s_lshr_b32 s0, s11, 31
	s_add_i32 s0, s11, s0
	s_ashr_i32 s0, s0, 1
	v_mov_b32_e32 v2, 0
	v_subrev_u32_e32 v4, s0, v0
	v_mov_b32_e32 v3, 0
	v_mov_b32_e32 v5, 0
	s_getpc_b64 s[4:5]
	s_add_u32 s4, s4, _Z4maskIdE@rel32@lo+4
	s_addc_u32 s5, s5, _Z4maskIdE@rel32@hi+12
	s_branch .LBB0_3
.LBB0_2:                                ;   in Loop: Header=BB0_3 Depth=1
	s_or_b64 exec, exec, s[0:1]
	s_add_i32 s11, s11, -1
	s_add_u32 s4, s4, 8
	s_addc_u32 s5, s5, 0
	s_cmp_eq_u32 s11, 0
	v_add_u32_e32 v4, 1, v4
	s_cbranch_scc1 .LBB0_6
.LBB0_3:                                ; =>This Inner Loop Header: Depth=1
	v_cmp_lt_i32_e32 vcc, -1, v4
	v_cmp_gt_i32_e64 s[0:1], s10, v4
	s_and_b64 s[6:7], vcc, s[0:1]
	s_and_saveexec_b64 s[0:1], s[6:7]
	s_cbranch_execz .LBB0_2
; %bb.4:                                ;   in Loop: Header=BB0_3 Depth=1
	v_lshlrev_b64 v[6:7], 3, v[4:5]
	s_waitcnt lgkmcnt(0)
	v_mov_b32_e32 v1, s3
	v_add_co_u32_e32 v6, vcc, s2, v6
	v_addc_co_u32_e32 v7, vcc, v1, v7, vcc
	global_load_dwordx2 v[6:7], v[6:7], off
	s_load_dwordx2 s[6:7], s[4:5], 0x0
	s_waitcnt vmcnt(0) lgkmcnt(0)
	v_fma_f64 v[2:3], v[6:7], s[6:7], v[2:3]
	s_branch .LBB0_2
.LBB0_5:
	v_mov_b32_e32 v2, 0
	v_mov_b32_e32 v3, 0
.LBB0_6:
	v_ashrrev_i32_e32 v1, 31, v0
	v_lshlrev_b64 v[0:1], 3, v[0:1]
	v_mov_b32_e32 v4, s9
	v_add_co_u32_e32 v0, vcc, s8, v0
	v_addc_co_u32_e32 v1, vcc, v4, v1, vcc
	global_store_dwordx2 v[0:1], v[2:3], off
	s_endpgm
	.section	.rodata,"a",@progbits
	.p2align	6, 0x0
	.amdhsa_kernel _Z6conv1dIdEvPKT_PS0_ii
		.amdhsa_group_segment_fixed_size 0
		.amdhsa_private_segment_fixed_size 0
		.amdhsa_kernarg_size 280
		.amdhsa_user_sgpr_count 6
		.amdhsa_user_sgpr_private_segment_buffer 1
		.amdhsa_user_sgpr_dispatch_ptr 0
		.amdhsa_user_sgpr_queue_ptr 0
		.amdhsa_user_sgpr_kernarg_segment_ptr 1
		.amdhsa_user_sgpr_dispatch_id 0
		.amdhsa_user_sgpr_flat_scratch_init 0
		.amdhsa_user_sgpr_private_segment_size 0
		.amdhsa_uses_dynamic_stack 0
		.amdhsa_system_sgpr_private_segment_wavefront_offset 0
		.amdhsa_system_sgpr_workgroup_id_x 1
		.amdhsa_system_sgpr_workgroup_id_y 0
		.amdhsa_system_sgpr_workgroup_id_z 0
		.amdhsa_system_sgpr_workgroup_info 0
		.amdhsa_system_vgpr_workitem_id 0
		.amdhsa_next_free_vgpr 8
		.amdhsa_next_free_sgpr 12
		.amdhsa_reserve_vcc 1
		.amdhsa_reserve_flat_scratch 0
		.amdhsa_float_round_mode_32 0
		.amdhsa_float_round_mode_16_64 0
		.amdhsa_float_denorm_mode_32 3
		.amdhsa_float_denorm_mode_16_64 3
		.amdhsa_dx10_clamp 1
		.amdhsa_ieee_mode 1
		.amdhsa_fp16_overflow 0
		.amdhsa_exception_fp_ieee_invalid_op 0
		.amdhsa_exception_fp_denorm_src 0
		.amdhsa_exception_fp_ieee_div_zero 0
		.amdhsa_exception_fp_ieee_overflow 0
		.amdhsa_exception_fp_ieee_underflow 0
		.amdhsa_exception_fp_ieee_inexact 0
		.amdhsa_exception_int_div_zero 0
	.end_amdhsa_kernel
	.section	.text._Z6conv1dIdEvPKT_PS0_ii,"axG",@progbits,_Z6conv1dIdEvPKT_PS0_ii,comdat
.Lfunc_end0:
	.size	_Z6conv1dIdEvPKT_PS0_ii, .Lfunc_end0-_Z6conv1dIdEvPKT_PS0_ii
                                        ; -- End function
	.set _Z6conv1dIdEvPKT_PS0_ii.num_vgpr, 8
	.set _Z6conv1dIdEvPKT_PS0_ii.num_agpr, 0
	.set _Z6conv1dIdEvPKT_PS0_ii.numbered_sgpr, 12
	.set _Z6conv1dIdEvPKT_PS0_ii.num_named_barrier, 0
	.set _Z6conv1dIdEvPKT_PS0_ii.private_seg_size, 0
	.set _Z6conv1dIdEvPKT_PS0_ii.uses_vcc, 1
	.set _Z6conv1dIdEvPKT_PS0_ii.uses_flat_scratch, 0
	.set _Z6conv1dIdEvPKT_PS0_ii.has_dyn_sized_stack, 0
	.set _Z6conv1dIdEvPKT_PS0_ii.has_recursion, 0
	.set _Z6conv1dIdEvPKT_PS0_ii.has_indirect_call, 0
	.section	.AMDGPU.csdata,"",@progbits
; Kernel info:
; codeLenInByte = 256
; TotalNumSgprs: 16
; NumVgprs: 8
; ScratchSize: 0
; MemoryBound: 0
; FloatMode: 240
; IeeeMode: 1
; LDSByteSize: 0 bytes/workgroup (compile time only)
; SGPRBlocks: 1
; VGPRBlocks: 1
; NumSGPRsForWavesPerEU: 16
; NumVGPRsForWavesPerEU: 8
; Occupancy: 10
; WaveLimiterHint : 0
; COMPUTE_PGM_RSRC2:SCRATCH_EN: 0
; COMPUTE_PGM_RSRC2:USER_SGPR: 6
; COMPUTE_PGM_RSRC2:TRAP_HANDLER: 0
; COMPUTE_PGM_RSRC2:TGID_X_EN: 1
; COMPUTE_PGM_RSRC2:TGID_Y_EN: 0
; COMPUTE_PGM_RSRC2:TGID_Z_EN: 0
; COMPUTE_PGM_RSRC2:TIDIG_COMP_CNT: 0
	.section	.text._Z12conv1d_tiledIdEvPKT_PS0_ii,"axG",@progbits,_Z12conv1d_tiledIdEvPKT_PS0_ii,comdat
	.protected	_Z12conv1d_tiledIdEvPKT_PS0_ii ; -- Begin function _Z12conv1d_tiledIdEvPKT_PS0_ii
	.globl	_Z12conv1d_tiledIdEvPKT_PS0_ii
	.p2align	8
	.type	_Z12conv1d_tiledIdEvPKT_PS0_ii,@function
_Z12conv1d_tiledIdEvPKT_PS0_ii:         ; @_Z12conv1d_tiledIdEvPKT_PS0_ii
; %bb.0:
	s_load_dword s7, s[4:5], 0x24
	s_load_dwordx2 s[8:9], s[4:5], 0x10
	s_load_dwordx4 s[0:3], s[4:5], 0x0
	s_waitcnt lgkmcnt(0)
	s_and_b32 s12, s7, 0xffff
	s_lshr_b32 s4, s9, 31
	s_add_i32 s4, s9, s4
	s_ashr_i32 s7, s4, 1
	s_sub_i32 s4, s12, s7
	v_cmp_le_u32_e32 vcc, s4, v0
	s_and_saveexec_b64 s[4:5], vcc
	s_cbranch_execz .LBB1_4
; %bb.1:
	s_add_i32 s10, s6, -1
	s_mul_i32 s10, s10, s12
	v_add_u32_e32 v3, s10, v0
	v_mov_b32_e32 v1, 0
	v_mov_b32_e32 v2, 0
	v_cmp_lt_i32_e32 vcc, -1, v3
	s_and_saveexec_b64 s[10:11], vcc
	s_cbranch_execz .LBB1_3
; %bb.2:
	v_mov_b32_e32 v4, 0
	v_lshlrev_b64 v[1:2], 3, v[3:4]
	v_mov_b32_e32 v3, s1
	v_add_co_u32_e32 v1, vcc, s0, v1
	v_addc_co_u32_e32 v2, vcc, v3, v2, vcc
	global_load_dwordx2 v[1:2], v[1:2], off
.LBB1_3:
	s_or_b64 exec, exec, s[10:11]
	s_sub_i32 s10, s7, s12
	s_lshl_b32 s10, s10, 3
	s_add_i32 s10, s10, 0
	v_lshl_add_u32 v3, v0, 3, s10
	s_waitcnt vmcnt(0)
	ds_write_b64 v3, v[1:2]
.LBB1_4:
	s_or_b64 exec, exec, s[4:5]
	s_mul_i32 s6, s6, s12
	v_add_u32_e32 v1, s6, v0
	v_mov_b32_e32 v2, 0
	v_lshlrev_b64 v[2:3], 3, v[1:2]
	v_mov_b32_e32 v4, s1
	v_add_co_u32_e32 v2, vcc, s0, v2
	v_addc_co_u32_e32 v3, vcc, v4, v3, vcc
	global_load_dwordx2 v[2:3], v[2:3], off
	s_lshl_b32 s10, s7, 3
	s_add_i32 s4, s10, 0
	v_lshl_add_u32 v4, v0, 3, s4
	v_cmp_gt_u32_e32 vcc, s7, v0
	s_waitcnt vmcnt(0)
	ds_write_b64 v4, v[2:3]
	s_and_saveexec_b64 s[4:5], vcc
	s_cbranch_execz .LBB1_8
; %bb.5:
	v_add_u32_e32 v4, s12, v1
	v_mov_b32_e32 v2, 0
	v_mov_b32_e32 v3, 0
	v_cmp_gt_i32_e32 vcc, s8, v4
	s_and_saveexec_b64 s[6:7], vcc
	s_cbranch_execz .LBB1_7
; %bb.6:
	v_ashrrev_i32_e32 v5, 31, v4
	v_lshlrev_b64 v[2:3], 3, v[4:5]
	v_mov_b32_e32 v4, s1
	v_add_co_u32_e32 v2, vcc, s0, v2
	v_addc_co_u32_e32 v3, vcc, v4, v3, vcc
	global_load_dwordx2 v[2:3], v[2:3], off
.LBB1_7:
	s_or_b64 exec, exec, s[6:7]
	s_lshl_b32 s0, s12, 3
	s_add_i32 s0, s10, s0
	s_add_i32 s0, s0, 0
	v_lshl_add_u32 v4, v0, 3, s0
	s_waitcnt vmcnt(0)
	ds_write_b64 v4, v[2:3]
.LBB1_8:
	s_or_b64 exec, exec, s[4:5]
	s_cmp_lt_i32 s9, 1
	s_waitcnt lgkmcnt(0)
	s_barrier
	s_cbranch_scc1 .LBB1_11
; %bb.9:
	v_mov_b32_e32 v3, 0
	v_lshl_add_u32 v0, v0, 3, 0
	v_mov_b32_e32 v4, 0
	s_getpc_b64 s[0:1]
	s_add_u32 s0, s0, _Z4maskIdE@rel32@lo+4
	s_addc_u32 s1, s1, _Z4maskIdE@rel32@hi+12
.LBB1_10:                               ; =>This Inner Loop Header: Depth=1
	ds_read_b64 v[5:6], v0
	s_load_dwordx2 s[4:5], s[0:1], 0x0
	s_add_i32 s9, s9, -1
	s_add_u32 s0, s0, 8
	s_addc_u32 s1, s1, 0
	s_cmp_eq_u32 s9, 0
	s_waitcnt lgkmcnt(0)
	v_fma_f64 v[3:4], v[5:6], s[4:5], v[3:4]
	v_add_u32_e32 v0, 8, v0
	s_cbranch_scc0 .LBB1_10
	s_branch .LBB1_12
.LBB1_11:
	v_mov_b32_e32 v3, 0
	v_mov_b32_e32 v4, 0
.LBB1_12:
	v_ashrrev_i32_e32 v2, 31, v1
	v_lshlrev_b64 v[0:1], 3, v[1:2]
	v_mov_b32_e32 v2, s3
	v_add_co_u32_e32 v0, vcc, s2, v0
	v_addc_co_u32_e32 v1, vcc, v2, v1, vcc
	global_store_dwordx2 v[0:1], v[3:4], off
	s_endpgm
	.section	.rodata,"a",@progbits
	.p2align	6, 0x0
	.amdhsa_kernel _Z12conv1d_tiledIdEvPKT_PS0_ii
		.amdhsa_group_segment_fixed_size 0
		.amdhsa_private_segment_fixed_size 0
		.amdhsa_kernarg_size 280
		.amdhsa_user_sgpr_count 6
		.amdhsa_user_sgpr_private_segment_buffer 1
		.amdhsa_user_sgpr_dispatch_ptr 0
		.amdhsa_user_sgpr_queue_ptr 0
		.amdhsa_user_sgpr_kernarg_segment_ptr 1
		.amdhsa_user_sgpr_dispatch_id 0
		.amdhsa_user_sgpr_flat_scratch_init 0
		.amdhsa_user_sgpr_private_segment_size 0
		.amdhsa_uses_dynamic_stack 0
		.amdhsa_system_sgpr_private_segment_wavefront_offset 0
		.amdhsa_system_sgpr_workgroup_id_x 1
		.amdhsa_system_sgpr_workgroup_id_y 0
		.amdhsa_system_sgpr_workgroup_id_z 0
		.amdhsa_system_sgpr_workgroup_info 0
		.amdhsa_system_vgpr_workitem_id 0
		.amdhsa_next_free_vgpr 7
		.amdhsa_next_free_sgpr 13
		.amdhsa_reserve_vcc 1
		.amdhsa_reserve_flat_scratch 0
		.amdhsa_float_round_mode_32 0
		.amdhsa_float_round_mode_16_64 0
		.amdhsa_float_denorm_mode_32 3
		.amdhsa_float_denorm_mode_16_64 3
		.amdhsa_dx10_clamp 1
		.amdhsa_ieee_mode 1
		.amdhsa_fp16_overflow 0
		.amdhsa_exception_fp_ieee_invalid_op 0
		.amdhsa_exception_fp_denorm_src 0
		.amdhsa_exception_fp_ieee_div_zero 0
		.amdhsa_exception_fp_ieee_overflow 0
		.amdhsa_exception_fp_ieee_underflow 0
		.amdhsa_exception_fp_ieee_inexact 0
		.amdhsa_exception_int_div_zero 0
	.end_amdhsa_kernel
	.section	.text._Z12conv1d_tiledIdEvPKT_PS0_ii,"axG",@progbits,_Z12conv1d_tiledIdEvPKT_PS0_ii,comdat
.Lfunc_end1:
	.size	_Z12conv1d_tiledIdEvPKT_PS0_ii, .Lfunc_end1-_Z12conv1d_tiledIdEvPKT_PS0_ii
                                        ; -- End function
	.set _Z12conv1d_tiledIdEvPKT_PS0_ii.num_vgpr, 7
	.set _Z12conv1d_tiledIdEvPKT_PS0_ii.num_agpr, 0
	.set _Z12conv1d_tiledIdEvPKT_PS0_ii.numbered_sgpr, 13
	.set _Z12conv1d_tiledIdEvPKT_PS0_ii.num_named_barrier, 0
	.set _Z12conv1d_tiledIdEvPKT_PS0_ii.private_seg_size, 0
	.set _Z12conv1d_tiledIdEvPKT_PS0_ii.uses_vcc, 1
	.set _Z12conv1d_tiledIdEvPKT_PS0_ii.uses_flat_scratch, 0
	.set _Z12conv1d_tiledIdEvPKT_PS0_ii.has_dyn_sized_stack, 0
	.set _Z12conv1d_tiledIdEvPKT_PS0_ii.has_recursion, 0
	.set _Z12conv1d_tiledIdEvPKT_PS0_ii.has_indirect_call, 0
	.section	.AMDGPU.csdata,"",@progbits
; Kernel info:
; codeLenInByte = 496
; TotalNumSgprs: 17
; NumVgprs: 7
; ScratchSize: 0
; MemoryBound: 0
; FloatMode: 240
; IeeeMode: 1
; LDSByteSize: 0 bytes/workgroup (compile time only)
; SGPRBlocks: 2
; VGPRBlocks: 1
; NumSGPRsForWavesPerEU: 17
; NumVGPRsForWavesPerEU: 7
; Occupancy: 10
; WaveLimiterHint : 0
; COMPUTE_PGM_RSRC2:SCRATCH_EN: 0
; COMPUTE_PGM_RSRC2:USER_SGPR: 6
; COMPUTE_PGM_RSRC2:TRAP_HANDLER: 0
; COMPUTE_PGM_RSRC2:TGID_X_EN: 1
; COMPUTE_PGM_RSRC2:TGID_Y_EN: 0
; COMPUTE_PGM_RSRC2:TGID_Z_EN: 0
; COMPUTE_PGM_RSRC2:TIDIG_COMP_CNT: 0
	.section	.text._Z20conv1d_tiled_cachingIdEvPKT_PS0_ii,"axG",@progbits,_Z20conv1d_tiled_cachingIdEvPKT_PS0_ii,comdat
	.protected	_Z20conv1d_tiled_cachingIdEvPKT_PS0_ii ; -- Begin function _Z20conv1d_tiled_cachingIdEvPKT_PS0_ii
	.globl	_Z20conv1d_tiled_cachingIdEvPKT_PS0_ii
	.p2align	8
	.type	_Z20conv1d_tiled_cachingIdEvPKT_PS0_ii,@function
_Z20conv1d_tiled_cachingIdEvPKT_PS0_ii: ; @_Z20conv1d_tiled_cachingIdEvPKT_PS0_ii
; %bb.0:
	s_load_dword s0, s[4:5], 0x24
	s_load_dwordx4 s[8:11], s[4:5], 0x0
	s_load_dwordx2 s[2:3], s[4:5], 0x10
	v_lshl_add_u32 v6, v0, 3, 0
	s_waitcnt lgkmcnt(0)
	s_and_b32 s0, s0, 0xffff
	s_mul_i32 s12, s6, s0
	v_add_u32_e32 v3, s12, v0
	v_ashrrev_i32_e32 v4, 31, v3
	v_lshlrev_b64 v[1:2], 3, v[3:4]
	v_mov_b32_e32 v5, s9
	v_add_co_u32_e32 v4, vcc, s8, v1
	v_addc_co_u32_e32 v5, vcc, v5, v2, vcc
	global_load_dwordx2 v[4:5], v[4:5], off
	s_cmp_lt_i32 s3, 1
	s_waitcnt vmcnt(0)
	ds_write_b64 v6, v[4:5]
	s_waitcnt lgkmcnt(0)
	s_barrier
	s_cbranch_scc1 .LBB2_9
; %bb.1:
	s_add_i32 s13, s12, s0
	s_lshr_b32 s0, s3, 31
	s_add_i32 s0, s3, s0
	s_ashr_i32 s0, s0, 1
	v_subrev_u32_e32 v5, s0, v3
	v_subrev_u32_e32 v0, s0, v0
	v_mov_b32_e32 v3, 0
	v_lshl_add_u32 v0, v0, 3, 0
	v_mov_b32_e32 v4, 0
	v_mov_b32_e32 v6, 0
	s_getpc_b64 s[4:5]
	s_add_u32 s4, s4, _Z4maskIdE@rel32@lo+4
	s_addc_u32 s5, s5, _Z4maskIdE@rel32@hi+12
	s_branch .LBB2_4
.LBB2_2:                                ;   in Loop: Header=BB2_4 Depth=1
	s_or_b64 exec, exec, s[0:1]
	s_load_dwordx2 s[0:1], s[4:5], 0x0
	s_waitcnt vmcnt(0) lgkmcnt(0)
	v_fma_f64 v[3:4], v[7:8], s[0:1], v[3:4]
.LBB2_3:                                ;   in Loop: Header=BB2_4 Depth=1
	s_or_b64 exec, exec, s[6:7]
	s_add_u32 s4, s4, 8
	s_addc_u32 s5, s5, 0
	s_add_i32 s3, s3, -1
	v_add_u32_e32 v0, 8, v0
	s_cmp_eq_u32 s3, 0
	v_add_u32_e32 v5, 1, v5
	s_cbranch_scc1 .LBB2_10
.LBB2_4:                                ; =>This Inner Loop Header: Depth=1
	v_cmp_lt_i32_e32 vcc, -1, v5
	v_cmp_gt_i32_e64 s[0:1], s2, v5
	s_and_b64 s[0:1], vcc, s[0:1]
	s_and_saveexec_b64 s[6:7], s[0:1]
	s_cbranch_execz .LBB2_3
; %bb.5:                                ;   in Loop: Header=BB2_4 Depth=1
	v_cmp_gt_i32_e32 vcc, s12, v5
	v_cmp_le_i32_e64 s[0:1], s13, v5
	s_or_b64 s[0:1], vcc, s[0:1]
                                        ; implicit-def: $vgpr7_vgpr8
	s_and_saveexec_b64 s[14:15], s[0:1]
	s_xor_b64 s[0:1], exec, s[14:15]
	s_cbranch_execz .LBB2_7
; %bb.6:                                ;   in Loop: Header=BB2_4 Depth=1
	v_lshlrev_b64 v[7:8], 3, v[5:6]
	v_mov_b32_e32 v9, s9
	v_add_co_u32_e32 v7, vcc, s8, v7
	v_addc_co_u32_e32 v8, vcc, v9, v8, vcc
	global_load_dwordx2 v[7:8], v[7:8], off
.LBB2_7:                                ;   in Loop: Header=BB2_4 Depth=1
	s_andn2_saveexec_b64 s[0:1], s[0:1]
	s_cbranch_execz .LBB2_2
; %bb.8:                                ;   in Loop: Header=BB2_4 Depth=1
	s_waitcnt vmcnt(0)
	ds_read_b64 v[7:8], v0
	s_branch .LBB2_2
.LBB2_9:
	v_mov_b32_e32 v3, 0
	v_mov_b32_e32 v4, 0
.LBB2_10:
	v_mov_b32_e32 v5, s11
	v_add_co_u32_e32 v0, vcc, s10, v1
	v_addc_co_u32_e32 v1, vcc, v5, v2, vcc
	global_store_dwordx2 v[0:1], v[3:4], off
	s_endpgm
	.section	.rodata,"a",@progbits
	.p2align	6, 0x0
	.amdhsa_kernel _Z20conv1d_tiled_cachingIdEvPKT_PS0_ii
		.amdhsa_group_segment_fixed_size 0
		.amdhsa_private_segment_fixed_size 0
		.amdhsa_kernarg_size 280
		.amdhsa_user_sgpr_count 6
		.amdhsa_user_sgpr_private_segment_buffer 1
		.amdhsa_user_sgpr_dispatch_ptr 0
		.amdhsa_user_sgpr_queue_ptr 0
		.amdhsa_user_sgpr_kernarg_segment_ptr 1
		.amdhsa_user_sgpr_dispatch_id 0
		.amdhsa_user_sgpr_flat_scratch_init 0
		.amdhsa_user_sgpr_private_segment_size 0
		.amdhsa_uses_dynamic_stack 0
		.amdhsa_system_sgpr_private_segment_wavefront_offset 0
		.amdhsa_system_sgpr_workgroup_id_x 1
		.amdhsa_system_sgpr_workgroup_id_y 0
		.amdhsa_system_sgpr_workgroup_id_z 0
		.amdhsa_system_sgpr_workgroup_info 0
		.amdhsa_system_vgpr_workitem_id 0
		.amdhsa_next_free_vgpr 10
		.amdhsa_next_free_sgpr 16
		.amdhsa_reserve_vcc 1
		.amdhsa_reserve_flat_scratch 0
		.amdhsa_float_round_mode_32 0
		.amdhsa_float_round_mode_16_64 0
		.amdhsa_float_denorm_mode_32 3
		.amdhsa_float_denorm_mode_16_64 3
		.amdhsa_dx10_clamp 1
		.amdhsa_ieee_mode 1
		.amdhsa_fp16_overflow 0
		.amdhsa_exception_fp_ieee_invalid_op 0
		.amdhsa_exception_fp_denorm_src 0
		.amdhsa_exception_fp_ieee_div_zero 0
		.amdhsa_exception_fp_ieee_overflow 0
		.amdhsa_exception_fp_ieee_underflow 0
		.amdhsa_exception_fp_ieee_inexact 0
		.amdhsa_exception_int_div_zero 0
	.end_amdhsa_kernel
	.section	.text._Z20conv1d_tiled_cachingIdEvPKT_PS0_ii,"axG",@progbits,_Z20conv1d_tiled_cachingIdEvPKT_PS0_ii,comdat
.Lfunc_end2:
	.size	_Z20conv1d_tiled_cachingIdEvPKT_PS0_ii, .Lfunc_end2-_Z20conv1d_tiled_cachingIdEvPKT_PS0_ii
                                        ; -- End function
	.set _Z20conv1d_tiled_cachingIdEvPKT_PS0_ii.num_vgpr, 10
	.set _Z20conv1d_tiled_cachingIdEvPKT_PS0_ii.num_agpr, 0
	.set _Z20conv1d_tiled_cachingIdEvPKT_PS0_ii.numbered_sgpr, 16
	.set _Z20conv1d_tiled_cachingIdEvPKT_PS0_ii.num_named_barrier, 0
	.set _Z20conv1d_tiled_cachingIdEvPKT_PS0_ii.private_seg_size, 0
	.set _Z20conv1d_tiled_cachingIdEvPKT_PS0_ii.uses_vcc, 1
	.set _Z20conv1d_tiled_cachingIdEvPKT_PS0_ii.uses_flat_scratch, 0
	.set _Z20conv1d_tiled_cachingIdEvPKT_PS0_ii.has_dyn_sized_stack, 0
	.set _Z20conv1d_tiled_cachingIdEvPKT_PS0_ii.has_recursion, 0
	.set _Z20conv1d_tiled_cachingIdEvPKT_PS0_ii.has_indirect_call, 0
	.section	.AMDGPU.csdata,"",@progbits
; Kernel info:
; codeLenInByte = 372
; TotalNumSgprs: 20
; NumVgprs: 10
; ScratchSize: 0
; MemoryBound: 0
; FloatMode: 240
; IeeeMode: 1
; LDSByteSize: 0 bytes/workgroup (compile time only)
; SGPRBlocks: 2
; VGPRBlocks: 2
; NumSGPRsForWavesPerEU: 20
; NumVGPRsForWavesPerEU: 10
; Occupancy: 10
; WaveLimiterHint : 0
; COMPUTE_PGM_RSRC2:SCRATCH_EN: 0
; COMPUTE_PGM_RSRC2:USER_SGPR: 6
; COMPUTE_PGM_RSRC2:TRAP_HANDLER: 0
; COMPUTE_PGM_RSRC2:TGID_X_EN: 1
; COMPUTE_PGM_RSRC2:TGID_Y_EN: 0
; COMPUTE_PGM_RSRC2:TGID_Z_EN: 0
; COMPUTE_PGM_RSRC2:TIDIG_COMP_CNT: 0
	.section	.text._Z6conv1dIfEvPKT_PS0_ii,"axG",@progbits,_Z6conv1dIfEvPKT_PS0_ii,comdat
	.protected	_Z6conv1dIfEvPKT_PS0_ii ; -- Begin function _Z6conv1dIfEvPKT_PS0_ii
	.globl	_Z6conv1dIfEvPKT_PS0_ii
	.p2align	8
	.type	_Z6conv1dIfEvPKT_PS0_ii,@function
_Z6conv1dIfEvPKT_PS0_ii:                ; @_Z6conv1dIfEvPKT_PS0_ii
; %bb.0:
	s_load_dword s0, s[4:5], 0x24
	s_load_dwordx4 s[8:11], s[4:5], 0x8
	s_waitcnt lgkmcnt(0)
	s_and_b32 s0, s0, 0xffff
	s_mul_i32 s6, s6, s0
	s_cmp_lt_i32 s11, 1
	v_add_u32_e32 v0, s6, v0
	s_cbranch_scc1 .LBB3_5
; %bb.1:
	s_load_dwordx2 s[2:3], s[4:5], 0x0
	s_lshr_b32 s0, s11, 31
	s_add_i32 s0, s11, s0
	s_ashr_i32 s0, s0, 1
	v_mov_b32_e32 v2, 0
	v_subrev_u32_e32 v1, s0, v0
	v_mov_b32_e32 v3, v2
	s_getpc_b64 s[4:5]
	s_add_u32 s4, s4, _Z4maskIfE@rel32@lo+4
	s_addc_u32 s5, s5, _Z4maskIfE@rel32@hi+12
	s_branch .LBB3_3
.LBB3_2:                                ;   in Loop: Header=BB3_3 Depth=1
	s_or_b64 exec, exec, s[0:1]
	s_add_i32 s11, s11, -1
	s_add_u32 s4, s4, 4
	s_addc_u32 s5, s5, 0
	s_cmp_eq_u32 s11, 0
	v_add_u32_e32 v1, 1, v1
	s_cbranch_scc1 .LBB3_6
.LBB3_3:                                ; =>This Inner Loop Header: Depth=1
	v_cmp_lt_i32_e32 vcc, -1, v1
	v_cmp_gt_i32_e64 s[0:1], s10, v1
	s_and_b64 s[6:7], vcc, s[0:1]
	s_and_saveexec_b64 s[0:1], s[6:7]
	s_cbranch_execz .LBB3_2
; %bb.4:                                ;   in Loop: Header=BB3_3 Depth=1
	v_lshlrev_b64 v[4:5], 2, v[1:2]
	s_waitcnt lgkmcnt(0)
	v_mov_b32_e32 v6, s3
	v_add_co_u32_e32 v4, vcc, s2, v4
	v_addc_co_u32_e32 v5, vcc, v6, v5, vcc
	global_load_dword v4, v[4:5], off
	s_load_dword s6, s[4:5], 0x0
	s_waitcnt vmcnt(0) lgkmcnt(0)
	v_fmac_f32_e32 v3, s6, v4
	s_branch .LBB3_2
.LBB3_5:
	v_mov_b32_e32 v3, 0
.LBB3_6:
	v_ashrrev_i32_e32 v1, 31, v0
	v_lshlrev_b64 v[0:1], 2, v[0:1]
	v_mov_b32_e32 v2, s9
	v_add_co_u32_e32 v0, vcc, s8, v0
	v_addc_co_u32_e32 v1, vcc, v2, v1, vcc
	global_store_dword v[0:1], v3, off
	s_endpgm
	.section	.rodata,"a",@progbits
	.p2align	6, 0x0
	.amdhsa_kernel _Z6conv1dIfEvPKT_PS0_ii
		.amdhsa_group_segment_fixed_size 0
		.amdhsa_private_segment_fixed_size 0
		.amdhsa_kernarg_size 280
		.amdhsa_user_sgpr_count 6
		.amdhsa_user_sgpr_private_segment_buffer 1
		.amdhsa_user_sgpr_dispatch_ptr 0
		.amdhsa_user_sgpr_queue_ptr 0
		.amdhsa_user_sgpr_kernarg_segment_ptr 1
		.amdhsa_user_sgpr_dispatch_id 0
		.amdhsa_user_sgpr_flat_scratch_init 0
		.amdhsa_user_sgpr_private_segment_size 0
		.amdhsa_uses_dynamic_stack 0
		.amdhsa_system_sgpr_private_segment_wavefront_offset 0
		.amdhsa_system_sgpr_workgroup_id_x 1
		.amdhsa_system_sgpr_workgroup_id_y 0
		.amdhsa_system_sgpr_workgroup_id_z 0
		.amdhsa_system_sgpr_workgroup_info 0
		.amdhsa_system_vgpr_workitem_id 0
		.amdhsa_next_free_vgpr 7
		.amdhsa_next_free_sgpr 12
		.amdhsa_reserve_vcc 1
		.amdhsa_reserve_flat_scratch 0
		.amdhsa_float_round_mode_32 0
		.amdhsa_float_round_mode_16_64 0
		.amdhsa_float_denorm_mode_32 3
		.amdhsa_float_denorm_mode_16_64 3
		.amdhsa_dx10_clamp 1
		.amdhsa_ieee_mode 1
		.amdhsa_fp16_overflow 0
		.amdhsa_exception_fp_ieee_invalid_op 0
		.amdhsa_exception_fp_denorm_src 0
		.amdhsa_exception_fp_ieee_div_zero 0
		.amdhsa_exception_fp_ieee_overflow 0
		.amdhsa_exception_fp_ieee_underflow 0
		.amdhsa_exception_fp_ieee_inexact 0
		.amdhsa_exception_int_div_zero 0
	.end_amdhsa_kernel
	.section	.text._Z6conv1dIfEvPKT_PS0_ii,"axG",@progbits,_Z6conv1dIfEvPKT_PS0_ii,comdat
.Lfunc_end3:
	.size	_Z6conv1dIfEvPKT_PS0_ii, .Lfunc_end3-_Z6conv1dIfEvPKT_PS0_ii
                                        ; -- End function
	.set _Z6conv1dIfEvPKT_PS0_ii.num_vgpr, 7
	.set _Z6conv1dIfEvPKT_PS0_ii.num_agpr, 0
	.set _Z6conv1dIfEvPKT_PS0_ii.numbered_sgpr, 12
	.set _Z6conv1dIfEvPKT_PS0_ii.num_named_barrier, 0
	.set _Z6conv1dIfEvPKT_PS0_ii.private_seg_size, 0
	.set _Z6conv1dIfEvPKT_PS0_ii.uses_vcc, 1
	.set _Z6conv1dIfEvPKT_PS0_ii.uses_flat_scratch, 0
	.set _Z6conv1dIfEvPKT_PS0_ii.has_dyn_sized_stack, 0
	.set _Z6conv1dIfEvPKT_PS0_ii.has_recursion, 0
	.set _Z6conv1dIfEvPKT_PS0_ii.has_indirect_call, 0
	.section	.AMDGPU.csdata,"",@progbits
; Kernel info:
; codeLenInByte = 244
; TotalNumSgprs: 16
; NumVgprs: 7
; ScratchSize: 0
; MemoryBound: 0
; FloatMode: 240
; IeeeMode: 1
; LDSByteSize: 0 bytes/workgroup (compile time only)
; SGPRBlocks: 1
; VGPRBlocks: 1
; NumSGPRsForWavesPerEU: 16
; NumVGPRsForWavesPerEU: 7
; Occupancy: 10
; WaveLimiterHint : 0
; COMPUTE_PGM_RSRC2:SCRATCH_EN: 0
; COMPUTE_PGM_RSRC2:USER_SGPR: 6
; COMPUTE_PGM_RSRC2:TRAP_HANDLER: 0
; COMPUTE_PGM_RSRC2:TGID_X_EN: 1
; COMPUTE_PGM_RSRC2:TGID_Y_EN: 0
; COMPUTE_PGM_RSRC2:TGID_Z_EN: 0
; COMPUTE_PGM_RSRC2:TIDIG_COMP_CNT: 0
	.section	.text._Z12conv1d_tiledIfEvPKT_PS0_ii,"axG",@progbits,_Z12conv1d_tiledIfEvPKT_PS0_ii,comdat
	.protected	_Z12conv1d_tiledIfEvPKT_PS0_ii ; -- Begin function _Z12conv1d_tiledIfEvPKT_PS0_ii
	.globl	_Z12conv1d_tiledIfEvPKT_PS0_ii
	.p2align	8
	.type	_Z12conv1d_tiledIfEvPKT_PS0_ii,@function
_Z12conv1d_tiledIfEvPKT_PS0_ii:         ; @_Z12conv1d_tiledIfEvPKT_PS0_ii
; %bb.0:
	s_load_dword s7, s[4:5], 0x24
	s_load_dwordx2 s[8:9], s[4:5], 0x10
	s_load_dwordx4 s[0:3], s[4:5], 0x0
	s_waitcnt lgkmcnt(0)
	s_and_b32 s12, s7, 0xffff
	s_lshr_b32 s4, s9, 31
	s_add_i32 s4, s9, s4
	s_ashr_i32 s7, s4, 1
	s_sub_i32 s4, s12, s7
	v_cmp_le_u32_e32 vcc, s4, v0
	s_and_saveexec_b64 s[4:5], vcc
	s_cbranch_execz .LBB4_4
; %bb.1:
	s_add_i32 s10, s6, -1
	s_mul_i32 s10, s10, s12
	v_add_u32_e32 v1, s10, v0
	v_cmp_lt_i32_e32 vcc, -1, v1
	v_mov_b32_e32 v2, 0
	s_and_saveexec_b64 s[10:11], vcc
	s_cbranch_execz .LBB4_3
; %bb.2:
	v_mov_b32_e32 v2, 0
	v_lshlrev_b64 v[1:2], 2, v[1:2]
	v_mov_b32_e32 v3, s1
	v_add_co_u32_e32 v1, vcc, s0, v1
	v_addc_co_u32_e32 v2, vcc, v3, v2, vcc
	global_load_dword v2, v[1:2], off
.LBB4_3:
	s_or_b64 exec, exec, s[10:11]
	s_sub_i32 s10, s7, s12
	s_lshl_b32 s10, s10, 2
	s_add_i32 s10, s10, 0
	v_lshl_add_u32 v1, v0, 2, s10
	s_waitcnt vmcnt(0)
	ds_write_b32 v1, v2
.LBB4_4:
	s_or_b64 exec, exec, s[4:5]
	s_mul_i32 s6, s6, s12
	v_add_u32_e32 v1, s6, v0
	v_mov_b32_e32 v2, 0
	v_lshlrev_b64 v[3:4], 2, v[1:2]
	v_mov_b32_e32 v5, s1
	v_add_co_u32_e32 v3, vcc, s0, v3
	v_addc_co_u32_e32 v4, vcc, v5, v4, vcc
	global_load_dword v3, v[3:4], off
	s_lshl_b32 s10, s7, 2
	s_add_i32 s4, s10, 0
	v_lshl_add_u32 v4, v0, 2, s4
	v_cmp_gt_u32_e32 vcc, s7, v0
	s_waitcnt vmcnt(0)
	ds_write_b32 v4, v3
	s_and_saveexec_b64 s[4:5], vcc
	s_cbranch_execz .LBB4_8
; %bb.5:
	v_add_u32_e32 v3, s12, v1
	v_cmp_gt_i32_e32 vcc, s8, v3
	s_and_saveexec_b64 s[6:7], vcc
	s_cbranch_execz .LBB4_7
; %bb.6:
	v_ashrrev_i32_e32 v4, 31, v3
	v_lshlrev_b64 v[2:3], 2, v[3:4]
	v_mov_b32_e32 v4, s1
	v_add_co_u32_e32 v2, vcc, s0, v2
	v_addc_co_u32_e32 v3, vcc, v4, v3, vcc
	global_load_dword v2, v[2:3], off
.LBB4_7:
	s_or_b64 exec, exec, s[6:7]
	s_lshl_b32 s0, s12, 2
	s_add_i32 s0, s10, s0
	s_add_i32 s0, s0, 0
	v_lshl_add_u32 v3, v0, 2, s0
	s_waitcnt vmcnt(0)
	ds_write_b32 v3, v2
.LBB4_8:
	s_or_b64 exec, exec, s[4:5]
	s_cmp_lt_i32 s9, 1
	s_waitcnt lgkmcnt(0)
	s_barrier
	s_cbranch_scc1 .LBB4_11
; %bb.9:
	v_lshl_add_u32 v2, v0, 2, 0
	v_mov_b32_e32 v0, 0
	s_getpc_b64 s[0:1]
	s_add_u32 s0, s0, _Z4maskIfE@rel32@lo+4
	s_addc_u32 s1, s1, _Z4maskIfE@rel32@hi+12
.LBB4_10:                               ; =>This Inner Loop Header: Depth=1
	ds_read_b32 v3, v2
	s_load_dword s4, s[0:1], 0x0
	s_add_i32 s9, s9, -1
	s_add_u32 s0, s0, 4
	s_addc_u32 s1, s1, 0
	v_add_u32_e32 v2, 4, v2
	s_cmp_eq_u32 s9, 0
	s_waitcnt lgkmcnt(0)
	v_fmac_f32_e32 v0, s4, v3
	s_cbranch_scc0 .LBB4_10
	s_branch .LBB4_12
.LBB4_11:
	v_mov_b32_e32 v0, 0
.LBB4_12:
	v_ashrrev_i32_e32 v2, 31, v1
	v_lshlrev_b64 v[1:2], 2, v[1:2]
	v_mov_b32_e32 v3, s3
	v_add_co_u32_e32 v1, vcc, s2, v1
	v_addc_co_u32_e32 v2, vcc, v3, v2, vcc
	global_store_dword v[1:2], v0, off
	s_endpgm
	.section	.rodata,"a",@progbits
	.p2align	6, 0x0
	.amdhsa_kernel _Z12conv1d_tiledIfEvPKT_PS0_ii
		.amdhsa_group_segment_fixed_size 0
		.amdhsa_private_segment_fixed_size 0
		.amdhsa_kernarg_size 280
		.amdhsa_user_sgpr_count 6
		.amdhsa_user_sgpr_private_segment_buffer 1
		.amdhsa_user_sgpr_dispatch_ptr 0
		.amdhsa_user_sgpr_queue_ptr 0
		.amdhsa_user_sgpr_kernarg_segment_ptr 1
		.amdhsa_user_sgpr_dispatch_id 0
		.amdhsa_user_sgpr_flat_scratch_init 0
		.amdhsa_user_sgpr_private_segment_size 0
		.amdhsa_uses_dynamic_stack 0
		.amdhsa_system_sgpr_private_segment_wavefront_offset 0
		.amdhsa_system_sgpr_workgroup_id_x 1
		.amdhsa_system_sgpr_workgroup_id_y 0
		.amdhsa_system_sgpr_workgroup_id_z 0
		.amdhsa_system_sgpr_workgroup_info 0
		.amdhsa_system_vgpr_workitem_id 0
		.amdhsa_next_free_vgpr 6
		.amdhsa_next_free_sgpr 13
		.amdhsa_reserve_vcc 1
		.amdhsa_reserve_flat_scratch 0
		.amdhsa_float_round_mode_32 0
		.amdhsa_float_round_mode_16_64 0
		.amdhsa_float_denorm_mode_32 3
		.amdhsa_float_denorm_mode_16_64 3
		.amdhsa_dx10_clamp 1
		.amdhsa_ieee_mode 1
		.amdhsa_fp16_overflow 0
		.amdhsa_exception_fp_ieee_invalid_op 0
		.amdhsa_exception_fp_denorm_src 0
		.amdhsa_exception_fp_ieee_div_zero 0
		.amdhsa_exception_fp_ieee_overflow 0
		.amdhsa_exception_fp_ieee_underflow 0
		.amdhsa_exception_fp_ieee_inexact 0
		.amdhsa_exception_int_div_zero 0
	.end_amdhsa_kernel
	.section	.text._Z12conv1d_tiledIfEvPKT_PS0_ii,"axG",@progbits,_Z12conv1d_tiledIfEvPKT_PS0_ii,comdat
.Lfunc_end4:
	.size	_Z12conv1d_tiledIfEvPKT_PS0_ii, .Lfunc_end4-_Z12conv1d_tiledIfEvPKT_PS0_ii
                                        ; -- End function
	.set _Z12conv1d_tiledIfEvPKT_PS0_ii.num_vgpr, 6
	.set _Z12conv1d_tiledIfEvPKT_PS0_ii.num_agpr, 0
	.set _Z12conv1d_tiledIfEvPKT_PS0_ii.numbered_sgpr, 13
	.set _Z12conv1d_tiledIfEvPKT_PS0_ii.num_named_barrier, 0
	.set _Z12conv1d_tiledIfEvPKT_PS0_ii.private_seg_size, 0
	.set _Z12conv1d_tiledIfEvPKT_PS0_ii.uses_vcc, 1
	.set _Z12conv1d_tiledIfEvPKT_PS0_ii.uses_flat_scratch, 0
	.set _Z12conv1d_tiledIfEvPKT_PS0_ii.has_dyn_sized_stack, 0
	.set _Z12conv1d_tiledIfEvPKT_PS0_ii.has_recursion, 0
	.set _Z12conv1d_tiledIfEvPKT_PS0_ii.has_indirect_call, 0
	.section	.AMDGPU.csdata,"",@progbits
; Kernel info:
; codeLenInByte = 472
; TotalNumSgprs: 17
; NumVgprs: 6
; ScratchSize: 0
; MemoryBound: 0
; FloatMode: 240
; IeeeMode: 1
; LDSByteSize: 0 bytes/workgroup (compile time only)
; SGPRBlocks: 2
; VGPRBlocks: 1
; NumSGPRsForWavesPerEU: 17
; NumVGPRsForWavesPerEU: 6
; Occupancy: 10
; WaveLimiterHint : 0
; COMPUTE_PGM_RSRC2:SCRATCH_EN: 0
; COMPUTE_PGM_RSRC2:USER_SGPR: 6
; COMPUTE_PGM_RSRC2:TRAP_HANDLER: 0
; COMPUTE_PGM_RSRC2:TGID_X_EN: 1
; COMPUTE_PGM_RSRC2:TGID_Y_EN: 0
; COMPUTE_PGM_RSRC2:TGID_Z_EN: 0
; COMPUTE_PGM_RSRC2:TIDIG_COMP_CNT: 0
	.section	.text._Z20conv1d_tiled_cachingIfEvPKT_PS0_ii,"axG",@progbits,_Z20conv1d_tiled_cachingIfEvPKT_PS0_ii,comdat
	.protected	_Z20conv1d_tiled_cachingIfEvPKT_PS0_ii ; -- Begin function _Z20conv1d_tiled_cachingIfEvPKT_PS0_ii
	.globl	_Z20conv1d_tiled_cachingIfEvPKT_PS0_ii
	.p2align	8
	.type	_Z20conv1d_tiled_cachingIfEvPKT_PS0_ii,@function
_Z20conv1d_tiled_cachingIfEvPKT_PS0_ii: ; @_Z20conv1d_tiled_cachingIfEvPKT_PS0_ii
; %bb.0:
	s_load_dword s0, s[4:5], 0x24
	s_load_dwordx4 s[8:11], s[4:5], 0x0
	s_load_dwordx2 s[2:3], s[4:5], 0x10
	s_waitcnt lgkmcnt(0)
	s_and_b32 s0, s0, 0xffff
	s_mul_i32 s12, s6, s0
	v_add_u32_e32 v3, s12, v0
	v_ashrrev_i32_e32 v4, 31, v3
	v_lshlrev_b64 v[1:2], 2, v[3:4]
	v_mov_b32_e32 v5, s9
	v_add_co_u32_e32 v4, vcc, s8, v1
	v_addc_co_u32_e32 v5, vcc, v5, v2, vcc
	global_load_dword v4, v[4:5], off
	v_lshl_add_u32 v5, v0, 2, 0
	s_cmp_lt_i32 s3, 1
	s_waitcnt vmcnt(0)
	ds_write_b32 v5, v4
	s_waitcnt lgkmcnt(0)
	s_barrier
	s_cbranch_scc1 .LBB5_9
; %bb.1:
	s_add_i32 s13, s12, s0
	s_lshr_b32 s0, s3, 31
	s_add_i32 s0, s3, s0
	s_ashr_i32 s0, s0, 1
	v_subrev_u32_e32 v0, s0, v0
	v_mov_b32_e32 v4, 0
	v_subrev_u32_e32 v3, s0, v3
	v_lshl_add_u32 v5, v0, 2, 0
	v_mov_b32_e32 v0, v4
	s_getpc_b64 s[4:5]
	s_add_u32 s4, s4, _Z4maskIfE@rel32@lo+4
	s_addc_u32 s5, s5, _Z4maskIfE@rel32@hi+12
	s_branch .LBB5_4
.LBB5_2:                                ;   in Loop: Header=BB5_4 Depth=1
	s_or_b64 exec, exec, s[0:1]
	s_load_dword s0, s[4:5], 0x0
	s_waitcnt vmcnt(0) lgkmcnt(0)
	v_fmac_f32_e32 v0, s0, v6
.LBB5_3:                                ;   in Loop: Header=BB5_4 Depth=1
	s_or_b64 exec, exec, s[6:7]
	s_add_u32 s4, s4, 4
	s_addc_u32 s5, s5, 0
	s_add_i32 s3, s3, -1
	v_add_u32_e32 v5, 4, v5
	s_cmp_eq_u32 s3, 0
	v_add_u32_e32 v3, 1, v3
	s_cbranch_scc1 .LBB5_10
.LBB5_4:                                ; =>This Inner Loop Header: Depth=1
	v_cmp_lt_i32_e32 vcc, -1, v3
	v_cmp_gt_i32_e64 s[0:1], s2, v3
	s_and_b64 s[0:1], vcc, s[0:1]
	s_and_saveexec_b64 s[6:7], s[0:1]
	s_cbranch_execz .LBB5_3
; %bb.5:                                ;   in Loop: Header=BB5_4 Depth=1
	v_cmp_gt_i32_e32 vcc, s12, v3
	v_cmp_le_i32_e64 s[0:1], s13, v3
	s_or_b64 s[0:1], vcc, s[0:1]
                                        ; implicit-def: $vgpr6
	s_and_saveexec_b64 s[14:15], s[0:1]
	s_xor_b64 s[0:1], exec, s[14:15]
	s_cbranch_execz .LBB5_7
; %bb.6:                                ;   in Loop: Header=BB5_4 Depth=1
	v_lshlrev_b64 v[6:7], 2, v[3:4]
	v_mov_b32_e32 v8, s9
	v_add_co_u32_e32 v6, vcc, s8, v6
	v_addc_co_u32_e32 v7, vcc, v8, v7, vcc
	global_load_dword v6, v[6:7], off
.LBB5_7:                                ;   in Loop: Header=BB5_4 Depth=1
	s_andn2_saveexec_b64 s[0:1], s[0:1]
	s_cbranch_execz .LBB5_2
; %bb.8:                                ;   in Loop: Header=BB5_4 Depth=1
	s_waitcnt vmcnt(0)
	ds_read_b32 v6, v5
	s_branch .LBB5_2
.LBB5_9:
	v_mov_b32_e32 v0, 0
.LBB5_10:
	v_mov_b32_e32 v3, s11
	v_add_co_u32_e32 v1, vcc, s10, v1
	v_addc_co_u32_e32 v2, vcc, v3, v2, vcc
	global_store_dword v[1:2], v0, off
	s_endpgm
	.section	.rodata,"a",@progbits
	.p2align	6, 0x0
	.amdhsa_kernel _Z20conv1d_tiled_cachingIfEvPKT_PS0_ii
		.amdhsa_group_segment_fixed_size 0
		.amdhsa_private_segment_fixed_size 0
		.amdhsa_kernarg_size 280
		.amdhsa_user_sgpr_count 6
		.amdhsa_user_sgpr_private_segment_buffer 1
		.amdhsa_user_sgpr_dispatch_ptr 0
		.amdhsa_user_sgpr_queue_ptr 0
		.amdhsa_user_sgpr_kernarg_segment_ptr 1
		.amdhsa_user_sgpr_dispatch_id 0
		.amdhsa_user_sgpr_flat_scratch_init 0
		.amdhsa_user_sgpr_private_segment_size 0
		.amdhsa_uses_dynamic_stack 0
		.amdhsa_system_sgpr_private_segment_wavefront_offset 0
		.amdhsa_system_sgpr_workgroup_id_x 1
		.amdhsa_system_sgpr_workgroup_id_y 0
		.amdhsa_system_sgpr_workgroup_id_z 0
		.amdhsa_system_sgpr_workgroup_info 0
		.amdhsa_system_vgpr_workitem_id 0
		.amdhsa_next_free_vgpr 9
		.amdhsa_next_free_sgpr 16
		.amdhsa_reserve_vcc 1
		.amdhsa_reserve_flat_scratch 0
		.amdhsa_float_round_mode_32 0
		.amdhsa_float_round_mode_16_64 0
		.amdhsa_float_denorm_mode_32 3
		.amdhsa_float_denorm_mode_16_64 3
		.amdhsa_dx10_clamp 1
		.amdhsa_ieee_mode 1
		.amdhsa_fp16_overflow 0
		.amdhsa_exception_fp_ieee_invalid_op 0
		.amdhsa_exception_fp_denorm_src 0
		.amdhsa_exception_fp_ieee_div_zero 0
		.amdhsa_exception_fp_ieee_overflow 0
		.amdhsa_exception_fp_ieee_underflow 0
		.amdhsa_exception_fp_ieee_inexact 0
		.amdhsa_exception_int_div_zero 0
	.end_amdhsa_kernel
	.section	.text._Z20conv1d_tiled_cachingIfEvPKT_PS0_ii,"axG",@progbits,_Z20conv1d_tiled_cachingIfEvPKT_PS0_ii,comdat
.Lfunc_end5:
	.size	_Z20conv1d_tiled_cachingIfEvPKT_PS0_ii, .Lfunc_end5-_Z20conv1d_tiled_cachingIfEvPKT_PS0_ii
                                        ; -- End function
	.set _Z20conv1d_tiled_cachingIfEvPKT_PS0_ii.num_vgpr, 9
	.set _Z20conv1d_tiled_cachingIfEvPKT_PS0_ii.num_agpr, 0
	.set _Z20conv1d_tiled_cachingIfEvPKT_PS0_ii.numbered_sgpr, 16
	.set _Z20conv1d_tiled_cachingIfEvPKT_PS0_ii.num_named_barrier, 0
	.set _Z20conv1d_tiled_cachingIfEvPKT_PS0_ii.private_seg_size, 0
	.set _Z20conv1d_tiled_cachingIfEvPKT_PS0_ii.uses_vcc, 1
	.set _Z20conv1d_tiled_cachingIfEvPKT_PS0_ii.uses_flat_scratch, 0
	.set _Z20conv1d_tiled_cachingIfEvPKT_PS0_ii.has_dyn_sized_stack, 0
	.set _Z20conv1d_tiled_cachingIfEvPKT_PS0_ii.has_recursion, 0
	.set _Z20conv1d_tiled_cachingIfEvPKT_PS0_ii.has_indirect_call, 0
	.section	.AMDGPU.csdata,"",@progbits
; Kernel info:
; codeLenInByte = 360
; TotalNumSgprs: 20
; NumVgprs: 9
; ScratchSize: 0
; MemoryBound: 0
; FloatMode: 240
; IeeeMode: 1
; LDSByteSize: 0 bytes/workgroup (compile time only)
; SGPRBlocks: 2
; VGPRBlocks: 2
; NumSGPRsForWavesPerEU: 20
; NumVGPRsForWavesPerEU: 9
; Occupancy: 10
; WaveLimiterHint : 0
; COMPUTE_PGM_RSRC2:SCRATCH_EN: 0
; COMPUTE_PGM_RSRC2:USER_SGPR: 6
; COMPUTE_PGM_RSRC2:TRAP_HANDLER: 0
; COMPUTE_PGM_RSRC2:TGID_X_EN: 1
; COMPUTE_PGM_RSRC2:TGID_Y_EN: 0
; COMPUTE_PGM_RSRC2:TGID_Z_EN: 0
; COMPUTE_PGM_RSRC2:TIDIG_COMP_CNT: 0
	.section	.text._Z6conv1dIsEvPKT_PS0_ii,"axG",@progbits,_Z6conv1dIsEvPKT_PS0_ii,comdat
	.protected	_Z6conv1dIsEvPKT_PS0_ii ; -- Begin function _Z6conv1dIsEvPKT_PS0_ii
	.globl	_Z6conv1dIsEvPKT_PS0_ii
	.p2align	8
	.type	_Z6conv1dIsEvPKT_PS0_ii,@function
_Z6conv1dIsEvPKT_PS0_ii:                ; @_Z6conv1dIsEvPKT_PS0_ii
; %bb.0:
	s_load_dword s0, s[4:5], 0x24
	s_load_dwordx4 s[8:11], s[4:5], 0x8
	s_waitcnt lgkmcnt(0)
	s_and_b32 s0, s0, 0xffff
	s_mul_i32 s6, s6, s0
	s_cmp_lt_i32 s11, 1
	v_add_u32_e32 v0, s6, v0
	s_cbranch_scc1 .LBB6_5
; %bb.1:
	s_load_dwordx2 s[2:3], s[4:5], 0x0
	s_lshr_b32 s0, s11, 31
	s_add_i32 s0, s11, s0
	s_ashr_i32 s0, s0, 1
	v_mov_b32_e32 v2, 0
	v_subrev_u32_e32 v1, s0, v0
	v_mov_b32_e32 v3, v2
	s_getpc_b64 s[4:5]
	s_add_u32 s4, s4, _Z4maskIsE@rel32@lo+4
	s_addc_u32 s5, s5, _Z4maskIsE@rel32@hi+12
	s_branch .LBB6_3
.LBB6_2:                                ;   in Loop: Header=BB6_3 Depth=1
	s_or_b64 exec, exec, s[0:1]
	s_add_i32 s11, s11, -1
	s_add_u32 s4, s4, 2
	s_addc_u32 s5, s5, 0
	s_cmp_eq_u32 s11, 0
	v_add_u32_e32 v1, 1, v1
	s_cbranch_scc1 .LBB6_6
.LBB6_3:                                ; =>This Inner Loop Header: Depth=1
	v_cmp_lt_i32_e32 vcc, -1, v1
	v_cmp_gt_i32_e64 s[0:1], s10, v1
	s_and_b64 s[6:7], vcc, s[0:1]
	s_and_saveexec_b64 s[0:1], s[6:7]
	s_cbranch_execz .LBB6_2
; %bb.4:                                ;   in Loop: Header=BB6_3 Depth=1
	v_lshlrev_b64 v[4:5], 1, v[1:2]
	s_waitcnt lgkmcnt(0)
	v_mov_b32_e32 v6, s3
	v_add_co_u32_e32 v4, vcc, s2, v4
	v_addc_co_u32_e32 v5, vcc, v6, v5, vcc
	global_load_ushort v6, v[4:5], off
	global_load_ushort v7, v2, s[4:5]
	s_waitcnt vmcnt(0)
	v_mad_legacy_u16 v3, v7, v6, v3
	s_branch .LBB6_2
.LBB6_5:
	v_mov_b32_e32 v3, 0
.LBB6_6:
	v_ashrrev_i32_e32 v1, 31, v0
	v_lshlrev_b64 v[0:1], 1, v[0:1]
	v_mov_b32_e32 v2, s9
	v_add_co_u32_e32 v0, vcc, s8, v0
	v_addc_co_u32_e32 v1, vcc, v2, v1, vcc
	global_store_short v[0:1], v3, off
	s_endpgm
	.section	.rodata,"a",@progbits
	.p2align	6, 0x0
	.amdhsa_kernel _Z6conv1dIsEvPKT_PS0_ii
		.amdhsa_group_segment_fixed_size 0
		.amdhsa_private_segment_fixed_size 0
		.amdhsa_kernarg_size 280
		.amdhsa_user_sgpr_count 6
		.amdhsa_user_sgpr_private_segment_buffer 1
		.amdhsa_user_sgpr_dispatch_ptr 0
		.amdhsa_user_sgpr_queue_ptr 0
		.amdhsa_user_sgpr_kernarg_segment_ptr 1
		.amdhsa_user_sgpr_dispatch_id 0
		.amdhsa_user_sgpr_flat_scratch_init 0
		.amdhsa_user_sgpr_private_segment_size 0
		.amdhsa_uses_dynamic_stack 0
		.amdhsa_system_sgpr_private_segment_wavefront_offset 0
		.amdhsa_system_sgpr_workgroup_id_x 1
		.amdhsa_system_sgpr_workgroup_id_y 0
		.amdhsa_system_sgpr_workgroup_id_z 0
		.amdhsa_system_sgpr_workgroup_info 0
		.amdhsa_system_vgpr_workitem_id 0
		.amdhsa_next_free_vgpr 8
		.amdhsa_next_free_sgpr 12
		.amdhsa_reserve_vcc 1
		.amdhsa_reserve_flat_scratch 0
		.amdhsa_float_round_mode_32 0
		.amdhsa_float_round_mode_16_64 0
		.amdhsa_float_denorm_mode_32 3
		.amdhsa_float_denorm_mode_16_64 3
		.amdhsa_dx10_clamp 1
		.amdhsa_ieee_mode 1
		.amdhsa_fp16_overflow 0
		.amdhsa_exception_fp_ieee_invalid_op 0
		.amdhsa_exception_fp_denorm_src 0
		.amdhsa_exception_fp_ieee_div_zero 0
		.amdhsa_exception_fp_ieee_overflow 0
		.amdhsa_exception_fp_ieee_underflow 0
		.amdhsa_exception_fp_ieee_inexact 0
		.amdhsa_exception_int_div_zero 0
	.end_amdhsa_kernel
	.section	.text._Z6conv1dIsEvPKT_PS0_ii,"axG",@progbits,_Z6conv1dIsEvPKT_PS0_ii,comdat
.Lfunc_end6:
	.size	_Z6conv1dIsEvPKT_PS0_ii, .Lfunc_end6-_Z6conv1dIsEvPKT_PS0_ii
                                        ; -- End function
	.set _Z6conv1dIsEvPKT_PS0_ii.num_vgpr, 8
	.set _Z6conv1dIsEvPKT_PS0_ii.num_agpr, 0
	.set _Z6conv1dIsEvPKT_PS0_ii.numbered_sgpr, 12
	.set _Z6conv1dIsEvPKT_PS0_ii.num_named_barrier, 0
	.set _Z6conv1dIsEvPKT_PS0_ii.private_seg_size, 0
	.set _Z6conv1dIsEvPKT_PS0_ii.uses_vcc, 1
	.set _Z6conv1dIsEvPKT_PS0_ii.uses_flat_scratch, 0
	.set _Z6conv1dIsEvPKT_PS0_ii.has_dyn_sized_stack, 0
	.set _Z6conv1dIsEvPKT_PS0_ii.has_recursion, 0
	.set _Z6conv1dIsEvPKT_PS0_ii.has_indirect_call, 0
	.section	.AMDGPU.csdata,"",@progbits
; Kernel info:
; codeLenInByte = 248
; TotalNumSgprs: 16
; NumVgprs: 8
; ScratchSize: 0
; MemoryBound: 0
; FloatMode: 240
; IeeeMode: 1
; LDSByteSize: 0 bytes/workgroup (compile time only)
; SGPRBlocks: 1
; VGPRBlocks: 1
; NumSGPRsForWavesPerEU: 16
; NumVGPRsForWavesPerEU: 8
; Occupancy: 10
; WaveLimiterHint : 0
; COMPUTE_PGM_RSRC2:SCRATCH_EN: 0
; COMPUTE_PGM_RSRC2:USER_SGPR: 6
; COMPUTE_PGM_RSRC2:TRAP_HANDLER: 0
; COMPUTE_PGM_RSRC2:TGID_X_EN: 1
; COMPUTE_PGM_RSRC2:TGID_Y_EN: 0
; COMPUTE_PGM_RSRC2:TGID_Z_EN: 0
; COMPUTE_PGM_RSRC2:TIDIG_COMP_CNT: 0
	.section	.text._Z12conv1d_tiledIsEvPKT_PS0_ii,"axG",@progbits,_Z12conv1d_tiledIsEvPKT_PS0_ii,comdat
	.protected	_Z12conv1d_tiledIsEvPKT_PS0_ii ; -- Begin function _Z12conv1d_tiledIsEvPKT_PS0_ii
	.globl	_Z12conv1d_tiledIsEvPKT_PS0_ii
	.p2align	8
	.type	_Z12conv1d_tiledIsEvPKT_PS0_ii,@function
_Z12conv1d_tiledIsEvPKT_PS0_ii:         ; @_Z12conv1d_tiledIsEvPKT_PS0_ii
; %bb.0:
	s_load_dword s7, s[4:5], 0x24
	s_load_dwordx2 s[8:9], s[4:5], 0x10
	s_load_dwordx4 s[0:3], s[4:5], 0x0
	s_waitcnt lgkmcnt(0)
	s_and_b32 s12, s7, 0xffff
	s_lshr_b32 s4, s9, 31
	s_add_i32 s4, s9, s4
	s_ashr_i32 s7, s4, 1
	s_sub_i32 s4, s12, s7
	v_cmp_le_u32_e32 vcc, s4, v0
	s_and_saveexec_b64 s[4:5], vcc
	s_cbranch_execz .LBB7_4
; %bb.1:
	s_add_i32 s10, s6, -1
	s_mul_i32 s10, s10, s12
	v_add_u32_e32 v1, s10, v0
	v_cmp_lt_i32_e32 vcc, -1, v1
	v_mov_b32_e32 v2, 0
	s_and_saveexec_b64 s[10:11], vcc
	s_cbranch_execz .LBB7_3
; %bb.2:
	v_mov_b32_e32 v2, 0
	v_lshlrev_b64 v[1:2], 1, v[1:2]
	v_mov_b32_e32 v3, s1
	v_add_co_u32_e32 v1, vcc, s0, v1
	v_addc_co_u32_e32 v2, vcc, v3, v2, vcc
	global_load_ushort v2, v[1:2], off
.LBB7_3:
	s_or_b64 exec, exec, s[10:11]
	s_sub_i32 s10, s7, s12
	s_lshl_b32 s10, s10, 1
	s_add_i32 s10, s10, 0
	v_lshl_add_u32 v1, v0, 1, s10
	s_waitcnt vmcnt(0)
	ds_write_b16 v1, v2
.LBB7_4:
	s_or_b64 exec, exec, s[4:5]
	s_mul_i32 s6, s6, s12
	v_add_u32_e32 v1, s6, v0
	v_mov_b32_e32 v2, 0
	v_lshlrev_b64 v[3:4], 1, v[1:2]
	v_mov_b32_e32 v5, s1
	v_add_co_u32_e32 v3, vcc, s0, v3
	v_addc_co_u32_e32 v4, vcc, v5, v4, vcc
	global_load_ushort v3, v[3:4], off
	s_lshl_b32 s10, s7, 1
	s_add_i32 s4, s10, 0
	v_lshl_add_u32 v4, v0, 1, s4
	v_cmp_gt_u32_e32 vcc, s7, v0
	s_waitcnt vmcnt(0)
	ds_write_b16 v4, v3
	s_and_saveexec_b64 s[4:5], vcc
	s_cbranch_execz .LBB7_8
; %bb.5:
	v_add_u32_e32 v3, s12, v1
	v_cmp_gt_i32_e32 vcc, s8, v3
	s_and_saveexec_b64 s[6:7], vcc
	s_cbranch_execz .LBB7_7
; %bb.6:
	v_ashrrev_i32_e32 v4, 31, v3
	v_lshlrev_b64 v[2:3], 1, v[3:4]
	v_mov_b32_e32 v4, s1
	v_add_co_u32_e32 v2, vcc, s0, v2
	v_addc_co_u32_e32 v3, vcc, v4, v3, vcc
	global_load_ushort v2, v[2:3], off
.LBB7_7:
	s_or_b64 exec, exec, s[6:7]
	s_lshl_b32 s0, s12, 1
	s_add_i32 s0, s10, s0
	s_add_i32 s0, s0, 0
	v_lshl_add_u32 v3, v0, 1, s0
	s_waitcnt vmcnt(0)
	ds_write_b16 v3, v2
.LBB7_8:
	s_or_b64 exec, exec, s[4:5]
	s_cmp_lt_i32 s9, 1
	s_waitcnt lgkmcnt(0)
	s_barrier
	s_cbranch_scc1 .LBB7_13
; %bb.9:
	s_cmp_eq_u32 s9, 1
	s_cbranch_scc1 .LBB7_14
; %bb.10:
	s_and_b32 s4, s9, 0x7ffffffe
	v_lshl_add_u32 v2, v0, 1, 0
	v_mov_b32_e32 v3, 0
	s_mov_b32 s5, s4
	s_getpc_b64 s[0:1]
	s_add_u32 s0, s0, _Z4maskIsE@rel32@lo+4
	s_addc_u32 s1, s1, _Z4maskIsE@rel32@hi+12
.LBB7_11:                               ; =>This Inner Loop Header: Depth=1
	ds_read_b32 v4, v2
	s_load_dword s6, s[0:1], 0x0
	s_add_i32 s5, s5, -2
	s_add_u32 s0, s0, 4
	s_addc_u32 s1, s1, 0
	v_add_u32_e32 v2, 4, v2
	s_cmp_lg_u32 s5, 0
	s_waitcnt lgkmcnt(0)
	v_pk_mad_u16 v3, s6, v4, v3
	s_cbranch_scc1 .LBB7_11
; %bb.12:
	s_cmp_lg_u32 s9, s4
	v_add_u16_sdwa v3, v3, v3 dst_sel:DWORD dst_unused:UNUSED_PAD src0_sel:DWORD src1_sel:WORD_1
	s_cselect_b64 s[0:1], -1, 0
	s_and_b64 vcc, exec, s[0:1]
	s_cbranch_vccnz .LBB7_15
	s_branch .LBB7_17
.LBB7_13:
	v_mov_b32_e32 v3, 0
	s_branch .LBB7_17
.LBB7_14:
	s_mov_b32 s4, 0
	v_mov_b32_e32 v3, 0
	s_cbranch_execz .LBB7_17
.LBB7_15:
	s_sub_i32 s5, s9, s4
	s_lshl_b32 s4, s4, 1
	s_getpc_b64 s[0:1]
	s_add_u32 s0, s0, _Z4maskIsE@rel32@lo+4
	s_addc_u32 s1, s1, _Z4maskIsE@rel32@hi+12
	s_add_u32 s0, s0, s4
	s_addc_u32 s1, s1, 0
	s_add_i32 s4, s4, 0
	v_lshl_add_u32 v0, v0, 1, s4
	v_mov_b32_e32 v2, 0
.LBB7_16:                               ; =>This Inner Loop Header: Depth=1
	global_load_ushort v4, v2, s[0:1]
	ds_read_u16 v5, v0
	s_add_i32 s5, s5, -1
	s_add_u32 s0, s0, 2
	s_addc_u32 s1, s1, 0
	v_add_u32_e32 v0, 2, v0
	s_cmp_eq_u32 s5, 0
	s_waitcnt vmcnt(0) lgkmcnt(0)
	v_mad_legacy_u16 v3, v4, v5, v3
	s_cbranch_scc0 .LBB7_16
.LBB7_17:
	v_ashrrev_i32_e32 v2, 31, v1
	v_lshlrev_b64 v[0:1], 1, v[1:2]
	v_mov_b32_e32 v2, s3
	v_add_co_u32_e32 v0, vcc, s2, v0
	v_addc_co_u32_e32 v1, vcc, v2, v1, vcc
	global_store_short v[0:1], v3, off
	s_endpgm
	.section	.rodata,"a",@progbits
	.p2align	6, 0x0
	.amdhsa_kernel _Z12conv1d_tiledIsEvPKT_PS0_ii
		.amdhsa_group_segment_fixed_size 0
		.amdhsa_private_segment_fixed_size 0
		.amdhsa_kernarg_size 280
		.amdhsa_user_sgpr_count 6
		.amdhsa_user_sgpr_private_segment_buffer 1
		.amdhsa_user_sgpr_dispatch_ptr 0
		.amdhsa_user_sgpr_queue_ptr 0
		.amdhsa_user_sgpr_kernarg_segment_ptr 1
		.amdhsa_user_sgpr_dispatch_id 0
		.amdhsa_user_sgpr_flat_scratch_init 0
		.amdhsa_user_sgpr_private_segment_size 0
		.amdhsa_uses_dynamic_stack 0
		.amdhsa_system_sgpr_private_segment_wavefront_offset 0
		.amdhsa_system_sgpr_workgroup_id_x 1
		.amdhsa_system_sgpr_workgroup_id_y 0
		.amdhsa_system_sgpr_workgroup_id_z 0
		.amdhsa_system_sgpr_workgroup_info 0
		.amdhsa_system_vgpr_workitem_id 0
		.amdhsa_next_free_vgpr 6
		.amdhsa_next_free_sgpr 13
		.amdhsa_reserve_vcc 1
		.amdhsa_reserve_flat_scratch 0
		.amdhsa_float_round_mode_32 0
		.amdhsa_float_round_mode_16_64 0
		.amdhsa_float_denorm_mode_32 3
		.amdhsa_float_denorm_mode_16_64 3
		.amdhsa_dx10_clamp 1
		.amdhsa_ieee_mode 1
		.amdhsa_fp16_overflow 0
		.amdhsa_exception_fp_ieee_invalid_op 0
		.amdhsa_exception_fp_denorm_src 0
		.amdhsa_exception_fp_ieee_div_zero 0
		.amdhsa_exception_fp_ieee_overflow 0
		.amdhsa_exception_fp_ieee_underflow 0
		.amdhsa_exception_fp_ieee_inexact 0
		.amdhsa_exception_int_div_zero 0
	.end_amdhsa_kernel
	.section	.text._Z12conv1d_tiledIsEvPKT_PS0_ii,"axG",@progbits,_Z12conv1d_tiledIsEvPKT_PS0_ii,comdat
.Lfunc_end7:
	.size	_Z12conv1d_tiledIsEvPKT_PS0_ii, .Lfunc_end7-_Z12conv1d_tiledIsEvPKT_PS0_ii
                                        ; -- End function
	.set _Z12conv1d_tiledIsEvPKT_PS0_ii.num_vgpr, 6
	.set _Z12conv1d_tiledIsEvPKT_PS0_ii.num_agpr, 0
	.set _Z12conv1d_tiledIsEvPKT_PS0_ii.numbered_sgpr, 13
	.set _Z12conv1d_tiledIsEvPKT_PS0_ii.num_named_barrier, 0
	.set _Z12conv1d_tiledIsEvPKT_PS0_ii.private_seg_size, 0
	.set _Z12conv1d_tiledIsEvPKT_PS0_ii.uses_vcc, 1
	.set _Z12conv1d_tiledIsEvPKT_PS0_ii.uses_flat_scratch, 0
	.set _Z12conv1d_tiledIsEvPKT_PS0_ii.has_dyn_sized_stack, 0
	.set _Z12conv1d_tiledIsEvPKT_PS0_ii.has_recursion, 0
	.set _Z12conv1d_tiledIsEvPKT_PS0_ii.has_indirect_call, 0
	.section	.AMDGPU.csdata,"",@progbits
; Kernel info:
; codeLenInByte = 640
; TotalNumSgprs: 17
; NumVgprs: 6
; ScratchSize: 0
; MemoryBound: 0
; FloatMode: 240
; IeeeMode: 1
; LDSByteSize: 0 bytes/workgroup (compile time only)
; SGPRBlocks: 2
; VGPRBlocks: 1
; NumSGPRsForWavesPerEU: 17
; NumVGPRsForWavesPerEU: 6
; Occupancy: 10
; WaveLimiterHint : 0
; COMPUTE_PGM_RSRC2:SCRATCH_EN: 0
; COMPUTE_PGM_RSRC2:USER_SGPR: 6
; COMPUTE_PGM_RSRC2:TRAP_HANDLER: 0
; COMPUTE_PGM_RSRC2:TGID_X_EN: 1
; COMPUTE_PGM_RSRC2:TGID_Y_EN: 0
; COMPUTE_PGM_RSRC2:TGID_Z_EN: 0
; COMPUTE_PGM_RSRC2:TIDIG_COMP_CNT: 0
	.section	.text._Z20conv1d_tiled_cachingIsEvPKT_PS0_ii,"axG",@progbits,_Z20conv1d_tiled_cachingIsEvPKT_PS0_ii,comdat
	.protected	_Z20conv1d_tiled_cachingIsEvPKT_PS0_ii ; -- Begin function _Z20conv1d_tiled_cachingIsEvPKT_PS0_ii
	.globl	_Z20conv1d_tiled_cachingIsEvPKT_PS0_ii
	.p2align	8
	.type	_Z20conv1d_tiled_cachingIsEvPKT_PS0_ii,@function
_Z20conv1d_tiled_cachingIsEvPKT_PS0_ii: ; @_Z20conv1d_tiled_cachingIsEvPKT_PS0_ii
; %bb.0:
	s_load_dword s0, s[4:5], 0x24
	s_load_dwordx4 s[8:11], s[4:5], 0x0
	s_load_dwordx2 s[2:3], s[4:5], 0x10
	s_waitcnt lgkmcnt(0)
	s_and_b32 s0, s0, 0xffff
	s_mul_i32 s12, s6, s0
	v_add_u32_e32 v3, s12, v0
	v_ashrrev_i32_e32 v4, 31, v3
	v_lshlrev_b64 v[1:2], 1, v[3:4]
	v_mov_b32_e32 v5, s9
	v_add_co_u32_e32 v4, vcc, s8, v1
	v_addc_co_u32_e32 v5, vcc, v5, v2, vcc
	global_load_ushort v4, v[4:5], off
	v_lshl_add_u32 v5, v0, 1, 0
	s_cmp_lt_i32 s3, 1
	s_waitcnt vmcnt(0)
	ds_write_b16 v5, v4
	s_waitcnt lgkmcnt(0)
	s_barrier
	s_cbranch_scc1 .LBB8_9
; %bb.1:
	s_add_i32 s13, s12, s0
	s_lshr_b32 s0, s3, 31
	s_add_i32 s0, s3, s0
	s_ashr_i32 s0, s0, 1
	v_subrev_u32_e32 v0, s0, v0
	v_mov_b32_e32 v4, 0
	v_subrev_u32_e32 v3, s0, v3
	v_lshl_add_u32 v5, v0, 1, 0
	v_mov_b32_e32 v0, v4
	s_getpc_b64 s[4:5]
	s_add_u32 s4, s4, _Z4maskIsE@rel32@lo+4
	s_addc_u32 s5, s5, _Z4maskIsE@rel32@hi+12
	s_branch .LBB8_4
.LBB8_2:                                ;   in Loop: Header=BB8_4 Depth=1
	s_or_b64 exec, exec, s[0:1]
	global_load_ushort v7, v4, s[4:5]
	s_waitcnt vmcnt(0) lgkmcnt(0)
	v_mad_legacy_u16 v0, v7, v6, v0
.LBB8_3:                                ;   in Loop: Header=BB8_4 Depth=1
	s_or_b64 exec, exec, s[6:7]
	s_add_u32 s4, s4, 2
	s_addc_u32 s5, s5, 0
	s_add_i32 s3, s3, -1
	v_add_u32_e32 v5, 2, v5
	s_cmp_eq_u32 s3, 0
	v_add_u32_e32 v3, 1, v3
	s_cbranch_scc1 .LBB8_10
.LBB8_4:                                ; =>This Inner Loop Header: Depth=1
	v_cmp_lt_i32_e32 vcc, -1, v3
	v_cmp_gt_i32_e64 s[0:1], s2, v3
	s_and_b64 s[0:1], vcc, s[0:1]
	s_and_saveexec_b64 s[6:7], s[0:1]
	s_cbranch_execz .LBB8_3
; %bb.5:                                ;   in Loop: Header=BB8_4 Depth=1
	v_cmp_gt_i32_e32 vcc, s12, v3
	v_cmp_le_i32_e64 s[0:1], s13, v3
	s_or_b64 s[0:1], vcc, s[0:1]
                                        ; implicit-def: $vgpr6
	s_and_saveexec_b64 s[14:15], s[0:1]
	s_xor_b64 s[0:1], exec, s[14:15]
	s_cbranch_execz .LBB8_7
; %bb.6:                                ;   in Loop: Header=BB8_4 Depth=1
	v_lshlrev_b64 v[6:7], 1, v[3:4]
	v_mov_b32_e32 v8, s9
	v_add_co_u32_e32 v6, vcc, s8, v6
	v_addc_co_u32_e32 v7, vcc, v8, v7, vcc
	global_load_ushort v6, v[6:7], off
.LBB8_7:                                ;   in Loop: Header=BB8_4 Depth=1
	s_andn2_saveexec_b64 s[0:1], s[0:1]
	s_cbranch_execz .LBB8_2
; %bb.8:                                ;   in Loop: Header=BB8_4 Depth=1
	s_waitcnt vmcnt(0)
	ds_read_u16 v6, v5
	s_branch .LBB8_2
.LBB8_9:
	v_mov_b32_e32 v0, 0
.LBB8_10:
	v_mov_b32_e32 v3, s11
	v_add_co_u32_e32 v1, vcc, s10, v1
	v_addc_co_u32_e32 v2, vcc, v3, v2, vcc
	global_store_short v[1:2], v0, off
	s_endpgm
	.section	.rodata,"a",@progbits
	.p2align	6, 0x0
	.amdhsa_kernel _Z20conv1d_tiled_cachingIsEvPKT_PS0_ii
		.amdhsa_group_segment_fixed_size 0
		.amdhsa_private_segment_fixed_size 0
		.amdhsa_kernarg_size 280
		.amdhsa_user_sgpr_count 6
		.amdhsa_user_sgpr_private_segment_buffer 1
		.amdhsa_user_sgpr_dispatch_ptr 0
		.amdhsa_user_sgpr_queue_ptr 0
		.amdhsa_user_sgpr_kernarg_segment_ptr 1
		.amdhsa_user_sgpr_dispatch_id 0
		.amdhsa_user_sgpr_flat_scratch_init 0
		.amdhsa_user_sgpr_private_segment_size 0
		.amdhsa_uses_dynamic_stack 0
		.amdhsa_system_sgpr_private_segment_wavefront_offset 0
		.amdhsa_system_sgpr_workgroup_id_x 1
		.amdhsa_system_sgpr_workgroup_id_y 0
		.amdhsa_system_sgpr_workgroup_id_z 0
		.amdhsa_system_sgpr_workgroup_info 0
		.amdhsa_system_vgpr_workitem_id 0
		.amdhsa_next_free_vgpr 9
		.amdhsa_next_free_sgpr 16
		.amdhsa_reserve_vcc 1
		.amdhsa_reserve_flat_scratch 0
		.amdhsa_float_round_mode_32 0
		.amdhsa_float_round_mode_16_64 0
		.amdhsa_float_denorm_mode_32 3
		.amdhsa_float_denorm_mode_16_64 3
		.amdhsa_dx10_clamp 1
		.amdhsa_ieee_mode 1
		.amdhsa_fp16_overflow 0
		.amdhsa_exception_fp_ieee_invalid_op 0
		.amdhsa_exception_fp_denorm_src 0
		.amdhsa_exception_fp_ieee_div_zero 0
		.amdhsa_exception_fp_ieee_overflow 0
		.amdhsa_exception_fp_ieee_underflow 0
		.amdhsa_exception_fp_ieee_inexact 0
		.amdhsa_exception_int_div_zero 0
	.end_amdhsa_kernel
	.section	.text._Z20conv1d_tiled_cachingIsEvPKT_PS0_ii,"axG",@progbits,_Z20conv1d_tiled_cachingIsEvPKT_PS0_ii,comdat
.Lfunc_end8:
	.size	_Z20conv1d_tiled_cachingIsEvPKT_PS0_ii, .Lfunc_end8-_Z20conv1d_tiled_cachingIsEvPKT_PS0_ii
                                        ; -- End function
	.set _Z20conv1d_tiled_cachingIsEvPKT_PS0_ii.num_vgpr, 9
	.set _Z20conv1d_tiled_cachingIsEvPKT_PS0_ii.num_agpr, 0
	.set _Z20conv1d_tiled_cachingIsEvPKT_PS0_ii.numbered_sgpr, 16
	.set _Z20conv1d_tiled_cachingIsEvPKT_PS0_ii.num_named_barrier, 0
	.set _Z20conv1d_tiled_cachingIsEvPKT_PS0_ii.private_seg_size, 0
	.set _Z20conv1d_tiled_cachingIsEvPKT_PS0_ii.uses_vcc, 1
	.set _Z20conv1d_tiled_cachingIsEvPKT_PS0_ii.uses_flat_scratch, 0
	.set _Z20conv1d_tiled_cachingIsEvPKT_PS0_ii.has_dyn_sized_stack, 0
	.set _Z20conv1d_tiled_cachingIsEvPKT_PS0_ii.has_recursion, 0
	.set _Z20conv1d_tiled_cachingIsEvPKT_PS0_ii.has_indirect_call, 0
	.section	.AMDGPU.csdata,"",@progbits
; Kernel info:
; codeLenInByte = 364
; TotalNumSgprs: 20
; NumVgprs: 9
; ScratchSize: 0
; MemoryBound: 0
; FloatMode: 240
; IeeeMode: 1
; LDSByteSize: 0 bytes/workgroup (compile time only)
; SGPRBlocks: 2
; VGPRBlocks: 2
; NumSGPRsForWavesPerEU: 20
; NumVGPRsForWavesPerEU: 9
; Occupancy: 10
; WaveLimiterHint : 0
; COMPUTE_PGM_RSRC2:SCRATCH_EN: 0
; COMPUTE_PGM_RSRC2:USER_SGPR: 6
; COMPUTE_PGM_RSRC2:TRAP_HANDLER: 0
; COMPUTE_PGM_RSRC2:TGID_X_EN: 1
; COMPUTE_PGM_RSRC2:TGID_Y_EN: 0
; COMPUTE_PGM_RSRC2:TGID_Z_EN: 0
; COMPUTE_PGM_RSRC2:TIDIG_COMP_CNT: 0
	.section	.AMDGPU.gpr_maximums,"",@progbits
	.set amdgpu.max_num_vgpr, 0
	.set amdgpu.max_num_agpr, 0
	.set amdgpu.max_num_sgpr, 0
	.section	.AMDGPU.csdata,"",@progbits
	.protected	_Z4maskIdE              ; @_Z4maskIdE
	.type	_Z4maskIdE,@object
	.section	.rodata._Z4maskIdE,"aG",@progbits,_Z4maskIdE,comdat
	.weak	_Z4maskIdE
	.p2align	4, 0x0
_Z4maskIdE:
	.zero	80
	.size	_Z4maskIdE, 80

	.protected	_Z4maskIsE              ; @_Z4maskIsE
	.type	_Z4maskIsE,@object
	.section	.rodata._Z4maskIsE,"aG",@progbits,_Z4maskIsE,comdat
	.weak	_Z4maskIsE
	.p2align	4, 0x0
_Z4maskIsE:
	.zero	20
	.size	_Z4maskIsE, 20

	.protected	_Z4maskIfE              ; @_Z4maskIfE
	.type	_Z4maskIfE,@object
	.section	.rodata._Z4maskIfE,"aG",@progbits,_Z4maskIfE,comdat
	.weak	_Z4maskIfE
	.p2align	4, 0x0
_Z4maskIfE:
	.zero	40
	.size	_Z4maskIfE, 40

	.type	__hip_cuid_d2b05bbfe2ea0d9a,@object ; @__hip_cuid_d2b05bbfe2ea0d9a
	.section	.bss,"aw",@nobits
	.globl	__hip_cuid_d2b05bbfe2ea0d9a
__hip_cuid_d2b05bbfe2ea0d9a:
	.byte	0                               ; 0x0
	.size	__hip_cuid_d2b05bbfe2ea0d9a, 1

	.ident	"AMD clang version 22.0.0git (https://github.com/RadeonOpenCompute/llvm-project roc-7.2.4 26084 f58b06dce1f9c15707c5f808fd002e18c2accf7e)"
	.section	".note.GNU-stack","",@progbits
	.addrsig
	.addrsig_sym _Z4maskIdE
	.addrsig_sym _Z4maskIsE
	.addrsig_sym _Z4maskIfE
	.addrsig_sym __hip_cuid_d2b05bbfe2ea0d9a
	.amdgpu_metadata
---
amdhsa.kernels:
  - .args:
      - .actual_access:  read_only
        .address_space:  global
        .offset:         0
        .size:           8
        .value_kind:     global_buffer
      - .actual_access:  write_only
        .address_space:  global
        .offset:         8
        .size:           8
        .value_kind:     global_buffer
      - .offset:         16
        .size:           4
        .value_kind:     by_value
      - .offset:         20
        .size:           4
        .value_kind:     by_value
      - .offset:         24
        .size:           4
        .value_kind:     hidden_block_count_x
      - .offset:         28
        .size:           4
        .value_kind:     hidden_block_count_y
      - .offset:         32
        .size:           4
        .value_kind:     hidden_block_count_z
      - .offset:         36
        .size:           2
        .value_kind:     hidden_group_size_x
      - .offset:         38
        .size:           2
        .value_kind:     hidden_group_size_y
      - .offset:         40
        .size:           2
        .value_kind:     hidden_group_size_z
      - .offset:         42
        .size:           2
        .value_kind:     hidden_remainder_x
      - .offset:         44
        .size:           2
        .value_kind:     hidden_remainder_y
      - .offset:         46
        .size:           2
        .value_kind:     hidden_remainder_z
      - .offset:         64
        .size:           8
        .value_kind:     hidden_global_offset_x
      - .offset:         72
        .size:           8
        .value_kind:     hidden_global_offset_y
      - .offset:         80
        .size:           8
        .value_kind:     hidden_global_offset_z
      - .offset:         88
        .size:           2
        .value_kind:     hidden_grid_dims
    .group_segment_fixed_size: 0
    .kernarg_segment_align: 8
    .kernarg_segment_size: 280
    .language:       OpenCL C
    .language_version:
      - 2
      - 0
    .max_flat_workgroup_size: 1024
    .name:           _Z6conv1dIdEvPKT_PS0_ii
    .private_segment_fixed_size: 0
    .sgpr_count:     16
    .sgpr_spill_count: 0
    .symbol:         _Z6conv1dIdEvPKT_PS0_ii.kd
    .uniform_work_group_size: 1
    .uses_dynamic_stack: false
    .vgpr_count:     8
    .vgpr_spill_count: 0
    .wavefront_size: 64
  - .args:
      - .actual_access:  read_only
        .address_space:  global
        .offset:         0
        .size:           8
        .value_kind:     global_buffer
      - .actual_access:  write_only
        .address_space:  global
        .offset:         8
        .size:           8
        .value_kind:     global_buffer
      - .offset:         16
        .size:           4
        .value_kind:     by_value
      - .offset:         20
        .size:           4
        .value_kind:     by_value
      - .offset:         24
        .size:           4
        .value_kind:     hidden_block_count_x
      - .offset:         28
        .size:           4
        .value_kind:     hidden_block_count_y
      - .offset:         32
        .size:           4
        .value_kind:     hidden_block_count_z
      - .offset:         36
        .size:           2
        .value_kind:     hidden_group_size_x
      - .offset:         38
        .size:           2
        .value_kind:     hidden_group_size_y
      - .offset:         40
        .size:           2
        .value_kind:     hidden_group_size_z
      - .offset:         42
        .size:           2
        .value_kind:     hidden_remainder_x
      - .offset:         44
        .size:           2
        .value_kind:     hidden_remainder_y
      - .offset:         46
        .size:           2
        .value_kind:     hidden_remainder_z
      - .offset:         64
        .size:           8
        .value_kind:     hidden_global_offset_x
      - .offset:         72
        .size:           8
        .value_kind:     hidden_global_offset_y
      - .offset:         80
        .size:           8
        .value_kind:     hidden_global_offset_z
      - .offset:         88
        .size:           2
        .value_kind:     hidden_grid_dims
      - .offset:         144
        .size:           4
        .value_kind:     hidden_dynamic_lds_size
    .group_segment_fixed_size: 0
    .kernarg_segment_align: 8
    .kernarg_segment_size: 280
    .language:       OpenCL C
    .language_version:
      - 2
      - 0
    .max_flat_workgroup_size: 1024
    .name:           _Z12conv1d_tiledIdEvPKT_PS0_ii
    .private_segment_fixed_size: 0
    .sgpr_count:     17
    .sgpr_spill_count: 0
    .symbol:         _Z12conv1d_tiledIdEvPKT_PS0_ii.kd
    .uniform_work_group_size: 1
    .uses_dynamic_stack: false
    .vgpr_count:     7
    .vgpr_spill_count: 0
    .wavefront_size: 64
  - .args:
      - .actual_access:  read_only
        .address_space:  global
        .offset:         0
        .size:           8
        .value_kind:     global_buffer
      - .actual_access:  write_only
        .address_space:  global
        .offset:         8
        .size:           8
        .value_kind:     global_buffer
      - .offset:         16
        .size:           4
        .value_kind:     by_value
      - .offset:         20
        .size:           4
        .value_kind:     by_value
      - .offset:         24
        .size:           4
        .value_kind:     hidden_block_count_x
      - .offset:         28
        .size:           4
        .value_kind:     hidden_block_count_y
      - .offset:         32
        .size:           4
        .value_kind:     hidden_block_count_z
      - .offset:         36
        .size:           2
        .value_kind:     hidden_group_size_x
      - .offset:         38
        .size:           2
        .value_kind:     hidden_group_size_y
      - .offset:         40
        .size:           2
        .value_kind:     hidden_group_size_z
      - .offset:         42
        .size:           2
        .value_kind:     hidden_remainder_x
      - .offset:         44
        .size:           2
        .value_kind:     hidden_remainder_y
      - .offset:         46
        .size:           2
        .value_kind:     hidden_remainder_z
      - .offset:         64
        .size:           8
        .value_kind:     hidden_global_offset_x
      - .offset:         72
        .size:           8
        .value_kind:     hidden_global_offset_y
      - .offset:         80
        .size:           8
        .value_kind:     hidden_global_offset_z
      - .offset:         88
        .size:           2
        .value_kind:     hidden_grid_dims
      - .offset:         144
        .size:           4
        .value_kind:     hidden_dynamic_lds_size
    .group_segment_fixed_size: 0
    .kernarg_segment_align: 8
    .kernarg_segment_size: 280
    .language:       OpenCL C
    .language_version:
      - 2
      - 0
    .max_flat_workgroup_size: 1024
    .name:           _Z20conv1d_tiled_cachingIdEvPKT_PS0_ii
    .private_segment_fixed_size: 0
    .sgpr_count:     20
    .sgpr_spill_count: 0
    .symbol:         _Z20conv1d_tiled_cachingIdEvPKT_PS0_ii.kd
    .uniform_work_group_size: 1
    .uses_dynamic_stack: false
    .vgpr_count:     10
    .vgpr_spill_count: 0
    .wavefront_size: 64
  - .args:
      - .actual_access:  read_only
        .address_space:  global
        .offset:         0
        .size:           8
        .value_kind:     global_buffer
      - .actual_access:  write_only
        .address_space:  global
        .offset:         8
        .size:           8
        .value_kind:     global_buffer
      - .offset:         16
        .size:           4
        .value_kind:     by_value
      - .offset:         20
        .size:           4
        .value_kind:     by_value
      - .offset:         24
        .size:           4
        .value_kind:     hidden_block_count_x
      - .offset:         28
        .size:           4
        .value_kind:     hidden_block_count_y
      - .offset:         32
        .size:           4
        .value_kind:     hidden_block_count_z
      - .offset:         36
        .size:           2
        .value_kind:     hidden_group_size_x
      - .offset:         38
        .size:           2
        .value_kind:     hidden_group_size_y
      - .offset:         40
        .size:           2
        .value_kind:     hidden_group_size_z
      - .offset:         42
        .size:           2
        .value_kind:     hidden_remainder_x
      - .offset:         44
        .size:           2
        .value_kind:     hidden_remainder_y
      - .offset:         46
        .size:           2
        .value_kind:     hidden_remainder_z
      - .offset:         64
        .size:           8
        .value_kind:     hidden_global_offset_x
      - .offset:         72
        .size:           8
        .value_kind:     hidden_global_offset_y
      - .offset:         80
        .size:           8
        .value_kind:     hidden_global_offset_z
      - .offset:         88
        .size:           2
        .value_kind:     hidden_grid_dims
    .group_segment_fixed_size: 0
    .kernarg_segment_align: 8
    .kernarg_segment_size: 280
    .language:       OpenCL C
    .language_version:
      - 2
      - 0
    .max_flat_workgroup_size: 1024
    .name:           _Z6conv1dIfEvPKT_PS0_ii
    .private_segment_fixed_size: 0
    .sgpr_count:     16
    .sgpr_spill_count: 0
    .symbol:         _Z6conv1dIfEvPKT_PS0_ii.kd
    .uniform_work_group_size: 1
    .uses_dynamic_stack: false
    .vgpr_count:     7
    .vgpr_spill_count: 0
    .wavefront_size: 64
  - .args:
      - .actual_access:  read_only
        .address_space:  global
        .offset:         0
        .size:           8
        .value_kind:     global_buffer
      - .actual_access:  write_only
        .address_space:  global
        .offset:         8
        .size:           8
        .value_kind:     global_buffer
      - .offset:         16
        .size:           4
        .value_kind:     by_value
      - .offset:         20
        .size:           4
        .value_kind:     by_value
      - .offset:         24
        .size:           4
        .value_kind:     hidden_block_count_x
      - .offset:         28
        .size:           4
        .value_kind:     hidden_block_count_y
      - .offset:         32
        .size:           4
        .value_kind:     hidden_block_count_z
      - .offset:         36
        .size:           2
        .value_kind:     hidden_group_size_x
      - .offset:         38
        .size:           2
        .value_kind:     hidden_group_size_y
      - .offset:         40
        .size:           2
        .value_kind:     hidden_group_size_z
      - .offset:         42
        .size:           2
        .value_kind:     hidden_remainder_x
      - .offset:         44
        .size:           2
        .value_kind:     hidden_remainder_y
      - .offset:         46
        .size:           2
        .value_kind:     hidden_remainder_z
      - .offset:         64
        .size:           8
        .value_kind:     hidden_global_offset_x
      - .offset:         72
        .size:           8
        .value_kind:     hidden_global_offset_y
      - .offset:         80
        .size:           8
        .value_kind:     hidden_global_offset_z
      - .offset:         88
        .size:           2
        .value_kind:     hidden_grid_dims
      - .offset:         144
        .size:           4
        .value_kind:     hidden_dynamic_lds_size
    .group_segment_fixed_size: 0
    .kernarg_segment_align: 8
    .kernarg_segment_size: 280
    .language:       OpenCL C
    .language_version:
      - 2
      - 0
    .max_flat_workgroup_size: 1024
    .name:           _Z12conv1d_tiledIfEvPKT_PS0_ii
    .private_segment_fixed_size: 0
    .sgpr_count:     17
    .sgpr_spill_count: 0
    .symbol:         _Z12conv1d_tiledIfEvPKT_PS0_ii.kd
    .uniform_work_group_size: 1
    .uses_dynamic_stack: false
    .vgpr_count:     6
    .vgpr_spill_count: 0
    .wavefront_size: 64
  - .args:
      - .actual_access:  read_only
        .address_space:  global
        .offset:         0
        .size:           8
        .value_kind:     global_buffer
      - .actual_access:  write_only
        .address_space:  global
        .offset:         8
        .size:           8
        .value_kind:     global_buffer
      - .offset:         16
        .size:           4
        .value_kind:     by_value
      - .offset:         20
        .size:           4
        .value_kind:     by_value
      - .offset:         24
        .size:           4
        .value_kind:     hidden_block_count_x
      - .offset:         28
        .size:           4
        .value_kind:     hidden_block_count_y
      - .offset:         32
        .size:           4
        .value_kind:     hidden_block_count_z
      - .offset:         36
        .size:           2
        .value_kind:     hidden_group_size_x
      - .offset:         38
        .size:           2
        .value_kind:     hidden_group_size_y
      - .offset:         40
        .size:           2
        .value_kind:     hidden_group_size_z
      - .offset:         42
        .size:           2
        .value_kind:     hidden_remainder_x
      - .offset:         44
        .size:           2
        .value_kind:     hidden_remainder_y
      - .offset:         46
        .size:           2
        .value_kind:     hidden_remainder_z
      - .offset:         64
        .size:           8
        .value_kind:     hidden_global_offset_x
      - .offset:         72
        .size:           8
        .value_kind:     hidden_global_offset_y
      - .offset:         80
        .size:           8
        .value_kind:     hidden_global_offset_z
      - .offset:         88
        .size:           2
        .value_kind:     hidden_grid_dims
      - .offset:         144
        .size:           4
        .value_kind:     hidden_dynamic_lds_size
    .group_segment_fixed_size: 0
    .kernarg_segment_align: 8
    .kernarg_segment_size: 280
    .language:       OpenCL C
    .language_version:
      - 2
      - 0
    .max_flat_workgroup_size: 1024
    .name:           _Z20conv1d_tiled_cachingIfEvPKT_PS0_ii
    .private_segment_fixed_size: 0
    .sgpr_count:     20
    .sgpr_spill_count: 0
    .symbol:         _Z20conv1d_tiled_cachingIfEvPKT_PS0_ii.kd
    .uniform_work_group_size: 1
    .uses_dynamic_stack: false
    .vgpr_count:     9
    .vgpr_spill_count: 0
    .wavefront_size: 64
  - .args:
      - .actual_access:  read_only
        .address_space:  global
        .offset:         0
        .size:           8
        .value_kind:     global_buffer
      - .actual_access:  write_only
        .address_space:  global
        .offset:         8
        .size:           8
        .value_kind:     global_buffer
      - .offset:         16
        .size:           4
        .value_kind:     by_value
      - .offset:         20
        .size:           4
        .value_kind:     by_value
      - .offset:         24
        .size:           4
        .value_kind:     hidden_block_count_x
      - .offset:         28
        .size:           4
        .value_kind:     hidden_block_count_y
      - .offset:         32
        .size:           4
        .value_kind:     hidden_block_count_z
      - .offset:         36
        .size:           2
        .value_kind:     hidden_group_size_x
      - .offset:         38
        .size:           2
        .value_kind:     hidden_group_size_y
      - .offset:         40
        .size:           2
        .value_kind:     hidden_group_size_z
      - .offset:         42
        .size:           2
        .value_kind:     hidden_remainder_x
      - .offset:         44
        .size:           2
        .value_kind:     hidden_remainder_y
      - .offset:         46
        .size:           2
        .value_kind:     hidden_remainder_z
      - .offset:         64
        .size:           8
        .value_kind:     hidden_global_offset_x
      - .offset:         72
        .size:           8
        .value_kind:     hidden_global_offset_y
      - .offset:         80
        .size:           8
        .value_kind:     hidden_global_offset_z
      - .offset:         88
        .size:           2
        .value_kind:     hidden_grid_dims
    .group_segment_fixed_size: 0
    .kernarg_segment_align: 8
    .kernarg_segment_size: 280
    .language:       OpenCL C
    .language_version:
      - 2
      - 0
    .max_flat_workgroup_size: 1024
    .name:           _Z6conv1dIsEvPKT_PS0_ii
    .private_segment_fixed_size: 0
    .sgpr_count:     16
    .sgpr_spill_count: 0
    .symbol:         _Z6conv1dIsEvPKT_PS0_ii.kd
    .uniform_work_group_size: 1
    .uses_dynamic_stack: false
    .vgpr_count:     8
    .vgpr_spill_count: 0
    .wavefront_size: 64
  - .args:
      - .actual_access:  read_only
        .address_space:  global
        .offset:         0
        .size:           8
        .value_kind:     global_buffer
      - .actual_access:  write_only
        .address_space:  global
        .offset:         8
        .size:           8
        .value_kind:     global_buffer
      - .offset:         16
        .size:           4
        .value_kind:     by_value
      - .offset:         20
        .size:           4
        .value_kind:     by_value
      - .offset:         24
        .size:           4
        .value_kind:     hidden_block_count_x
      - .offset:         28
        .size:           4
        .value_kind:     hidden_block_count_y
      - .offset:         32
        .size:           4
        .value_kind:     hidden_block_count_z
      - .offset:         36
        .size:           2
        .value_kind:     hidden_group_size_x
      - .offset:         38
        .size:           2
        .value_kind:     hidden_group_size_y
      - .offset:         40
        .size:           2
        .value_kind:     hidden_group_size_z
      - .offset:         42
        .size:           2
        .value_kind:     hidden_remainder_x
      - .offset:         44
        .size:           2
        .value_kind:     hidden_remainder_y
      - .offset:         46
        .size:           2
        .value_kind:     hidden_remainder_z
      - .offset:         64
        .size:           8
        .value_kind:     hidden_global_offset_x
      - .offset:         72
        .size:           8
        .value_kind:     hidden_global_offset_y
      - .offset:         80
        .size:           8
        .value_kind:     hidden_global_offset_z
      - .offset:         88
        .size:           2
        .value_kind:     hidden_grid_dims
      - .offset:         144
        .size:           4
        .value_kind:     hidden_dynamic_lds_size
    .group_segment_fixed_size: 0
    .kernarg_segment_align: 8
    .kernarg_segment_size: 280
    .language:       OpenCL C
    .language_version:
      - 2
      - 0
    .max_flat_workgroup_size: 1024
    .name:           _Z12conv1d_tiledIsEvPKT_PS0_ii
    .private_segment_fixed_size: 0
    .sgpr_count:     17
    .sgpr_spill_count: 0
    .symbol:         _Z12conv1d_tiledIsEvPKT_PS0_ii.kd
    .uniform_work_group_size: 1
    .uses_dynamic_stack: false
    .vgpr_count:     6
    .vgpr_spill_count: 0
    .wavefront_size: 64
  - .args:
      - .actual_access:  read_only
        .address_space:  global
        .offset:         0
        .size:           8
        .value_kind:     global_buffer
      - .actual_access:  write_only
        .address_space:  global
        .offset:         8
        .size:           8
        .value_kind:     global_buffer
      - .offset:         16
        .size:           4
        .value_kind:     by_value
      - .offset:         20
        .size:           4
        .value_kind:     by_value
      - .offset:         24
        .size:           4
        .value_kind:     hidden_block_count_x
      - .offset:         28
        .size:           4
        .value_kind:     hidden_block_count_y
      - .offset:         32
        .size:           4
        .value_kind:     hidden_block_count_z
      - .offset:         36
        .size:           2
        .value_kind:     hidden_group_size_x
      - .offset:         38
        .size:           2
        .value_kind:     hidden_group_size_y
      - .offset:         40
        .size:           2
        .value_kind:     hidden_group_size_z
      - .offset:         42
        .size:           2
        .value_kind:     hidden_remainder_x
      - .offset:         44
        .size:           2
        .value_kind:     hidden_remainder_y
      - .offset:         46
        .size:           2
        .value_kind:     hidden_remainder_z
      - .offset:         64
        .size:           8
        .value_kind:     hidden_global_offset_x
      - .offset:         72
        .size:           8
        .value_kind:     hidden_global_offset_y
      - .offset:         80
        .size:           8
        .value_kind:     hidden_global_offset_z
      - .offset:         88
        .size:           2
        .value_kind:     hidden_grid_dims
      - .offset:         144
        .size:           4
        .value_kind:     hidden_dynamic_lds_size
    .group_segment_fixed_size: 0
    .kernarg_segment_align: 8
    .kernarg_segment_size: 280
    .language:       OpenCL C
    .language_version:
      - 2
      - 0
    .max_flat_workgroup_size: 1024
    .name:           _Z20conv1d_tiled_cachingIsEvPKT_PS0_ii
    .private_segment_fixed_size: 0
    .sgpr_count:     20
    .sgpr_spill_count: 0
    .symbol:         _Z20conv1d_tiled_cachingIsEvPKT_PS0_ii.kd
    .uniform_work_group_size: 1
    .uses_dynamic_stack: false
    .vgpr_count:     9
    .vgpr_spill_count: 0
    .wavefront_size: 64
amdhsa.target:   amdgcn-amd-amdhsa--gfx906
amdhsa.version:
  - 1
  - 2
...

	.end_amdgpu_metadata
